;; amdgpu-corpus repo=ROCm/rocFFT kind=compiled arch=gfx1100 opt=O3
	.text
	.amdgcn_target "amdgcn-amd-amdhsa--gfx1100"
	.amdhsa_code_object_version 6
	.protected	bluestein_single_back_len1375_dim1_dp_op_CI_CI ; -- Begin function bluestein_single_back_len1375_dim1_dp_op_CI_CI
	.globl	bluestein_single_back_len1375_dim1_dp_op_CI_CI
	.p2align	8
	.type	bluestein_single_back_len1375_dim1_dp_op_CI_CI,@function
bluestein_single_back_len1375_dim1_dp_op_CI_CI: ; @bluestein_single_back_len1375_dim1_dp_op_CI_CI
; %bb.0:
	s_load_b128 s[16:19], s[0:1], 0x28
	v_mul_u32_u24_e32 v1, 0x4a8, v0
	s_mov_b32 s2, exec_lo
	v_mov_b32_e32 v8, 0
	s_delay_alu instid0(VALU_DEP_2) | instskip(NEXT) | instid1(VALU_DEP_1)
	v_lshrrev_b32_e32 v1, 16, v1
	v_add_nc_u32_e32 v7, s15, v1
	s_waitcnt lgkmcnt(0)
	s_delay_alu instid0(VALU_DEP_1)
	v_cmpx_gt_u64_e64 s[16:17], v[7:8]
	s_cbranch_execz .LBB0_15
; %bb.1:
	s_clause 0x1
	s_load_b128 s[4:7], s[0:1], 0x18
	s_load_b64 s[12:13], s[0:1], 0x0
	v_mul_lo_u16 v1, v1, 55
	s_delay_alu instid0(VALU_DEP_1) | instskip(NEXT) | instid1(VALU_DEP_1)
	v_sub_nc_u16 v2, v0, v1
	v_and_b32_e32 v145, 0xffff, v2
	s_delay_alu instid0(VALU_DEP_1)
	v_lshlrev_b32_e32 v200, 4, v145
	s_waitcnt lgkmcnt(0)
	s_load_b128 s[8:11], s[4:5], 0x0
	s_clause 0x4
	global_load_b128 v[125:128], v200, s[12:13] offset:4000
	global_load_b128 v[129:132], v200, s[12:13]
	global_load_b128 v[150:153], v200, s[12:13] offset:880
	global_load_b128 v[133:136], v200, s[12:13] offset:2000
	global_load_b128 v[162:165], v200, s[12:13] offset:2880
	v_add_co_u32 v87, s2, s12, v200
	s_delay_alu instid0(VALU_DEP_1) | instskip(NEXT) | instid1(VALU_DEP_2)
	v_add_co_ci_u32_e64 v88, null, s13, 0, s2
	v_add_co_u32 v5, vcc_lo, 0x1000, v87
	s_delay_alu instid0(VALU_DEP_2)
	v_add_co_ci_u32_e32 v6, vcc_lo, 0, v88, vcc_lo
	v_add_co_u32 v10, vcc_lo, 0x2000, v87
	v_add_co_ci_u32_e32 v11, vcc_lo, 0, v88, vcc_lo
	v_add_co_u32 v91, vcc_lo, 0x4000, v87
	v_add_co_ci_u32_e32 v92, vcc_lo, 0, v88, vcc_lo
	s_waitcnt lgkmcnt(0)
	v_mad_u64_u32 v[0:1], null, s10, v7, 0
	v_mad_u64_u32 v[3:4], null, s8, v145, 0
	s_clause 0x4
	global_load_b128 v[174:177], v[91:92], off offset:1616
	global_load_b128 v[170:173], v[91:92], off offset:3616
	;; [unrolled: 1-line block ×5, first 2 shown]
	scratch_store_b64 off, v[5:6], off offset:172 ; 8-byte Folded Spill
	s_clause 0x1
	global_load_b128 v[137:140], v[5:6], off offset:3904
	global_load_b128 v[158:161], v[10:11], off offset:688
	v_mov_b32_e32 v5, v7
	v_add_co_u32 v8, vcc_lo, 0x3000, v87
	v_add_co_ci_u32_e32 v9, vcc_lo, 0, v88, vcc_lo
	scratch_store_b64 off, v[5:6], off offset:156 ; 8-byte Folded Spill
	v_mad_u64_u32 v[5:6], null, s11, v7, v[1:2]
	s_mul_i32 s3, s9, 0x7d
	s_mul_hi_u32 s4, s8, 0x7d
	s_mul_i32 s2, s8, 0x7d
	s_add_i32 s3, s4, s3
	s_clause 0x1
	global_load_b128 v[194:197], v[10:11], off offset:1808
	global_load_b128 v[166:169], v[10:11], off offset:2688
	scratch_store_b64 off, v[10:11], off offset:164 ; 8-byte Folded Spill
	v_mad_u64_u32 v[6:7], null, s9, v145, v[4:5]
	v_mov_b32_e32 v1, v5
	s_lshl_b64 s[14:15], s[2:3], 4
	s_clause 0x3
	global_load_b128 v[190:193], v[10:11], off offset:3808
	global_load_b128 v[178:181], v[8:9], off offset:592
	;; [unrolled: 1-line block ×4, first 2 shown]
	scratch_store_b64 off, v[8:9], off offset:148 ; 8-byte Folded Spill
	s_clause 0x1
	global_load_b128 v[205:208], v[8:9], off offset:3712
	global_load_b128 v[186:189], v[91:92], off offset:496
	v_lshlrev_b64 v[0:1], 4, v[0:1]
	v_mov_b32_e32 v4, v6
	s_mul_hi_u32 s3, s8, 0xfffffb55
	s_mul_i32 s5, s9, 0xfffffb55
	s_sub_i32 s3, s3, s8
	s_mul_i32 s2, s8, 0xfffffb55
	v_lshlrev_b64 v[5:6], 4, v[3:4]
	v_add_co_u32 v3, vcc_lo, s18, v0
	v_add_co_ci_u32_e32 v4, vcc_lo, s19, v1, vcc_lo
	s_add_i32 s3, s3, s5
	s_delay_alu instid0(VALU_DEP_2) | instskip(NEXT) | instid1(VALU_DEP_2)
	v_add_co_u32 v0, vcc_lo, v3, v5
	v_add_co_ci_u32_e32 v1, vcc_lo, v4, v6, vcc_lo
	s_lshl_b64 s[2:3], s[2:3], 4
	s_delay_alu instid0(VALU_DEP_2) | instskip(NEXT) | instid1(VALU_DEP_2)
	v_add_co_u32 v9, vcc_lo, v0, s14
	v_add_co_ci_u32_e32 v10, vcc_lo, s15, v1, vcc_lo
	s_delay_alu instid0(VALU_DEP_2) | instskip(NEXT) | instid1(VALU_DEP_2)
	v_add_co_u32 v13, vcc_lo, v9, s14
	v_add_co_ci_u32_e32 v14, vcc_lo, s15, v10, vcc_lo
	s_clause 0x1
	global_load_b128 v[5:8], v[0:1], off
	global_load_b128 v[9:12], v[9:10], off
	v_add_co_u32 v17, vcc_lo, v13, s14
	v_add_co_ci_u32_e32 v18, vcc_lo, s15, v14, vcc_lo
	s_delay_alu instid0(VALU_DEP_2) | instskip(NEXT) | instid1(VALU_DEP_2)
	v_add_co_u32 v21, vcc_lo, v17, s14
	v_add_co_ci_u32_e32 v22, vcc_lo, s15, v18, vcc_lo
	s_clause 0x1
	global_load_b128 v[13:16], v[13:14], off
	global_load_b128 v[17:20], v[17:18], off
	v_add_co_u32 v25, vcc_lo, v21, s14
	v_add_co_ci_u32_e32 v26, vcc_lo, s15, v22, vcc_lo
	global_load_b128 v[21:24], v[21:22], off
	v_add_co_u32 v29, vcc_lo, v25, s14
	v_add_co_ci_u32_e32 v30, vcc_lo, s15, v26, vcc_lo
	;; [unrolled: 3-line block ×12, first 2 shown]
	s_delay_alu instid0(VALU_DEP_2) | instskip(NEXT) | instid1(VALU_DEP_2)
	v_add_co_u32 v0, vcc_lo, v69, s14
	v_add_co_ci_u32_e32 v1, vcc_lo, s15, v70, vcc_lo
	s_delay_alu instid0(VALU_DEP_2) | instskip(NEXT) | instid1(VALU_DEP_2)
	v_add_co_u32 v77, vcc_lo, v0, s14
	v_add_co_ci_u32_e32 v78, vcc_lo, s15, v1, vcc_lo
	;; [unrolled: 3-line block ×3, first 2 shown]
	global_load_b128 v[65:68], v[65:66], off
	global_load_b128 v[69:72], v[69:70], off
	;; [unrolled: 1-line block ×5, first 2 shown]
	v_add_co_u32 v85, vcc_lo, v85, s14
	v_add_co_ci_u32_e32 v86, vcc_lo, s15, v86, vcc_lo
	v_add_co_u32 v89, vcc_lo, 0x5000, v87
	v_add_co_ci_u32_e32 v90, vcc_lo, 0, v88, vcc_lo
	s_delay_alu instid0(VALU_DEP_4) | instskip(NEXT) | instid1(VALU_DEP_4)
	v_add_co_u32 v0, vcc_lo, v85, s14
	v_add_co_ci_u32_e32 v1, vcc_lo, s15, v86, vcc_lo
	s_clause 0x1
	scratch_store_b64 off, v[87:88], off offset:132
	scratch_store_b64 off, v[91:92], off offset:140
	global_load_b128 v[85:88], v[85:86], off
	s_clause 0x1
	global_load_b128 v[209:212], v[91:92], off offset:2496
	global_load_b128 v[213:216], v[89:90], off offset:400
	global_load_b128 v[89:92], v[0:1], off
	v_cmp_gt_u16_e32 vcc_lo, 15, v2
	v_or_b32_e32 v2, 0x550, v145
	s_waitcnt vmcnt(43)
	scratch_store_b128 off, v[125:128], off offset:180 ; 16-byte Folded Spill
	s_waitcnt vmcnt(42)
	scratch_store_b128 off, v[129:132], off offset:200 ; 16-byte Folded Spill
	;; [unrolled: 2-line block ×7, first 2 shown]
	s_waitcnt vmcnt(35)
	s_clause 0x1
	scratch_store_b128 off, v[141:144], off offset:424
	scratch_store_b128 off, v[174:177], off offset:328
	s_waitcnt vmcnt(33)
	s_clause 0x1
	scratch_store_b128 off, v[137:140], off offset:408
	scratch_store_b128 off, v[154:157], off offset:248
	s_waitcnt vmcnt(32)
	scratch_store_b128 off, v[158:161], off offset:264 ; 16-byte Folded Spill
	s_waitcnt vmcnt(31)
	scratch_store_b128 off, v[194:197], off offset:456 ; 16-byte Folded Spill
	s_waitcnt vmcnt(30)
	scratch_store_b128 off, v[166:169], off offset:296 ; 16-byte Folded Spill
	s_waitcnt vmcnt(29)
	scratch_store_b128 off, v[190:193], off offset:440 ; 16-byte Folded Spill
	s_waitcnt vmcnt(28)
	scratch_store_b128 off, v[178:181], off offset:344 ; 16-byte Folded Spill
	s_waitcnt vmcnt(27)
	scratch_store_b128 off, v[201:204], off offset:472 ; 16-byte Folded Spill
	s_waitcnt vmcnt(26)
	scratch_store_b128 off, v[182:185], off offset:360 ; 16-byte Folded Spill
	s_waitcnt vmcnt(25)
	scratch_store_b128 off, v[205:208], off offset:488 ; 16-byte Folded Spill
	s_waitcnt vmcnt(24)
	scratch_store_b128 off, v[186:189], off offset:376 ; 16-byte Folded Spill
	s_waitcnt vmcnt(23)
	v_mul_f64 v[93:94], v[7:8], v[131:132]
	v_mul_f64 v[95:96], v[5:6], v[131:132]
	s_waitcnt vmcnt(22)
	v_mul_f64 v[97:98], v[11:12], v[135:136]
	v_mul_f64 v[99:100], v[9:10], v[135:136]
	s_waitcnt vmcnt(21)
	v_mul_f64 v[101:102], v[15:16], v[127:128]
	s_waitcnt vmcnt(20)
	v_mul_f64 v[105:106], v[19:20], v[143:144]
	v_mul_f64 v[107:108], v[17:18], v[143:144]
	;; [unrolled: 1-line block ×3, first 2 shown]
	s_waitcnt vmcnt(19)
	v_mul_f64 v[109:110], v[23:24], v[139:140]
	v_mul_f64 v[111:112], v[21:22], v[139:140]
	s_waitcnt vmcnt(18)
	v_mul_f64 v[113:114], v[27:28], v[196:197]
	v_mul_f64 v[115:116], v[25:26], v[196:197]
	;; [unrolled: 3-line block ×4, first 2 shown]
	v_fma_f64 v[5:6], v[5:6], v[129:130], v[93:94]
	v_fma_f64 v[7:8], v[7:8], v[129:130], -v[95:96]
	s_waitcnt vmcnt(15)
	v_mul_f64 v[93:94], v[39:40], v[207:208]
	v_mul_f64 v[95:96], v[37:38], v[207:208]
	v_fma_f64 v[9:10], v[9:10], v[133:134], v[97:98]
	v_fma_f64 v[11:12], v[11:12], v[133:134], -v[99:100]
	s_waitcnt vmcnt(14)
	v_mul_f64 v[97:98], v[43:44], v[176:177]
	v_mul_f64 v[99:100], v[41:42], v[176:177]
	v_fma_f64 v[13:14], v[13:14], v[125:126], v[101:102]
	v_fma_f64 v[17:18], v[17:18], v[141:142], v[105:106]
	v_fma_f64 v[19:20], v[19:20], v[141:142], -v[107:108]
	s_waitcnt vmcnt(12)
	v_mul_f64 v[105:106], v[51:52], v[152:153]
	v_mul_f64 v[107:108], v[49:50], v[152:153]
	v_fma_f64 v[15:16], v[15:16], v[125:126], -v[103:104]
	v_mul_f64 v[101:102], v[47:48], v[172:173]
	v_mul_f64 v[103:104], v[45:46], v[172:173]
	v_fma_f64 v[21:22], v[21:22], v[137:138], v[109:110]
	v_fma_f64 v[23:24], v[23:24], v[137:138], -v[111:112]
	s_waitcnt vmcnt(11)
	v_mul_f64 v[109:110], v[55:56], v[164:165]
	v_mul_f64 v[111:112], v[53:54], v[164:165]
	v_fma_f64 v[25:26], v[25:26], v[194:195], v[113:114]
	v_fma_f64 v[27:28], v[27:28], v[194:195], -v[115:116]
	s_waitcnt vmcnt(10)
	;; [unrolled: 5-line block ×3, first 2 shown]
	v_mul_f64 v[117:118], v[63:64], v[156:157]
	v_mul_f64 v[119:120], v[61:62], v[156:157]
	v_fma_f64 v[33:34], v[33:34], v[201:202], v[121:122]
	v_fma_f64 v[35:36], v[35:36], v[201:202], -v[123:124]
	v_fma_f64 v[37:38], v[37:38], v[205:206], v[93:94]
	v_fma_f64 v[39:40], v[39:40], v[205:206], -v[95:96]
	s_waitcnt vmcnt(8)
	v_mul_f64 v[121:122], v[67:68], v[160:161]
	v_mul_f64 v[123:124], v[65:66], v[160:161]
	s_waitcnt vmcnt(7)
	v_mul_f64 v[125:126], v[71:72], v[168:169]
	v_mul_f64 v[127:128], v[69:70], v[168:169]
	;; [unrolled: 3-line block ×5, first 2 shown]
	v_fma_f64 v[41:42], v[41:42], v[174:175], v[97:98]
	v_fma_f64 v[43:44], v[43:44], v[174:175], -v[99:100]
	v_fma_f64 v[49:50], v[49:50], v[150:151], v[105:106]
	v_fma_f64 v[51:52], v[51:52], v[150:151], -v[107:108]
	;; [unrolled: 2-line block ×4, first 2 shown]
	v_fma_f64 v[57:58], v[57:58], v[146:147], v[113:114]
	s_waitcnt vmcnt(2)
	v_mul_f64 v[93:94], v[87:88], v[211:212]
	v_mul_f64 v[95:96], v[85:86], v[211:212]
	s_waitcnt vmcnt(0)
	v_mul_f64 v[141:142], v[91:92], v[215:216]
	v_mul_f64 v[143:144], v[89:90], v[215:216]
	v_fma_f64 v[59:60], v[59:60], v[146:147], -v[115:116]
	v_fma_f64 v[61:62], v[61:62], v[154:155], v[117:118]
	v_fma_f64 v[63:64], v[63:64], v[154:155], -v[119:120]
	s_clause 0x1
	scratch_store_b128 off, v[209:212], off offset:504
	scratch_store_b128 off, v[213:216], off offset:520
	s_load_b64 s[10:11], s[0:1], 0x38
	s_load_b128 s[4:7], s[6:7], 0x0
	v_fma_f64 v[65:66], v[65:66], v[158:159], v[121:122]
	v_fma_f64 v[67:68], v[67:68], v[158:159], -v[123:124]
	v_fma_f64 v[69:70], v[69:70], v[166:167], v[125:126]
	v_fma_f64 v[71:72], v[71:72], v[166:167], -v[127:128]
	;; [unrolled: 2-line block ×5, first 2 shown]
	ds_store_b128 v200, v[5:8]
	ds_store_b128 v200, v[49:52] offset:880
	ds_store_b128 v200, v[9:12] offset:2000
	;; [unrolled: 1-line block ×17, first 2 shown]
	v_fma_f64 v[85:86], v[85:86], v[209:210], v[93:94]
	v_fma_f64 v[87:88], v[87:88], v[209:210], -v[95:96]
	v_fma_f64 v[89:90], v[89:90], v[213:214], v[141:142]
	v_fma_f64 v[91:92], v[91:92], v[213:214], -v[143:144]
	s_clause 0x1
	scratch_store_b32 off, v145, off
	scratch_store_b32 off, v2, off offset:196
	ds_store_b128 v200, v[41:44] offset:18000
	ds_store_b128 v200, v[85:88] offset:18880
	;; [unrolled: 1-line block ×4, first 2 shown]
	s_and_saveexec_b32 s16, vcc_lo
	s_cbranch_execz .LBB0_3
; %bb.2:
	s_clause 0x1
	scratch_load_b32 v67, off, off offset:196
	scratch_load_b64 v[17:18], off, off offset:132
	v_add_co_u32 v0, s2, v0, s2
	s_delay_alu instid0(VALU_DEP_1) | instskip(NEXT) | instid1(VALU_DEP_2)
	v_add_co_ci_u32_e64 v1, s2, s3, v1, s2
	v_add_co_u32 v9, s2, v0, s14
	s_delay_alu instid0(VALU_DEP_1) | instskip(SKIP_2) | instid1(VALU_DEP_1)
	v_add_co_ci_u32_e64 v10, s2, s15, v1, s2
	global_load_b128 v[5:8], v[0:1], off
	v_add_co_u32 v21, s2, v9, s14
	v_add_co_ci_u32_e64 v22, s2, s15, v10, s2
	global_load_b128 v[9:12], v[9:10], off
	v_add_co_u32 v0, s2, v21, s14
	s_delay_alu instid0(VALU_DEP_1)
	v_add_co_ci_u32_e64 v1, s2, s15, v22, s2
	s_waitcnt vmcnt(2)
	s_clause 0x1
	global_load_b128 v[13:16], v[17:18], off offset:1760
	global_load_b128 v[17:20], v[17:18], off offset:3760
	global_load_b128 v[21:24], v[21:22], off
	scratch_load_b64 v[37:38], off, off offset:172 ; 8-byte Folded Reload
	v_add_co_u32 v45, s2, v0, s14
	s_delay_alu instid0(VALU_DEP_1)
	v_add_co_ci_u32_e64 v46, s2, s15, v1, s2
	v_mad_u64_u32 v[65:66], null, s8, v67, 0
	s_waitcnt vmcnt(0)
	global_load_b128 v[25:28], v[37:38], off offset:1664
	global_load_b128 v[29:32], v[0:1], off
	global_load_b128 v[33:36], v[45:46], off
	global_load_b128 v[37:40], v[37:38], off offset:3664
	scratch_load_b64 v[53:54], off, off offset:164 ; 8-byte Folded Reload
	v_mov_b32_e32 v0, v66
	v_add_co_u32 v1, s2, v45, s14
	s_delay_alu instid0(VALU_DEP_1) | instskip(SKIP_1) | instid1(VALU_DEP_3)
	v_add_co_ci_u32_e64 v2, s2, s15, v46, s2
	v_mul_f64 v[89:90], v[7:8], v[15:16]
	v_mad_u64_u32 v[49:50], null, s9, v67, v[0:1]
	v_add_co_u32 v50, s2, v1, s14
	s_delay_alu instid0(VALU_DEP_1) | instskip(SKIP_2) | instid1(VALU_DEP_1)
	v_add_co_ci_u32_e64 v51, s2, s15, v2, s2
	global_load_b128 v[45:48], v[1:2], off
	v_add_co_u32 v0, s2, v50, s14
	v_add_co_ci_u32_e64 v1, s2, s15, v51, s2
	v_mov_b32_e32 v66, v49
	s_delay_alu instid0(VALU_DEP_3) | instskip(NEXT) | instid1(VALU_DEP_1)
	v_add_co_u32 v73, s2, v0, s14
	v_add_co_ci_u32_e64 v74, s2, s15, v1, s2
	s_delay_alu instid0(VALU_DEP_3)
	v_lshlrev_b64 v[65:66], 4, v[65:66]
	v_mul_f64 v[15:16], v[5:6], v[15:16]
	v_mul_f64 v[91:92], v[11:12], v[19:20]
	;; [unrolled: 1-line block ×3, first 2 shown]
	s_waitcnt vmcnt(5)
	v_mul_f64 v[93:94], v[23:24], v[27:28]
	v_mul_f64 v[27:28], v[21:22], v[27:28]
	s_waitcnt vmcnt(2)
	v_mul_f64 v[95:96], v[31:32], v[39:40]
	s_waitcnt vmcnt(1)
	global_load_b128 v[41:44], v[53:54], off offset:1568
	global_load_b128 v[49:52], v[50:51], off
	global_load_b128 v[53:56], v[53:54], off offset:3568
	scratch_load_b64 v[69:70], off, off offset:148 ; 8-byte Folded Reload
	v_mul_f64 v[39:40], v[29:30], v[39:40]
	s_waitcnt vmcnt(0)
	global_load_b128 v[57:60], v[69:70], off offset:1472
	global_load_b128 v[61:64], v[0:1], off
	v_add_co_u32 v0, s2, v3, v65
	s_delay_alu instid0(VALU_DEP_1) | instskip(SKIP_2) | instid1(VALU_DEP_1)
	v_add_co_ci_u32_e64 v1, s2, v4, v66, s2
	v_lshlrev_b32_e32 v4, 4, v67
	v_add_co_u32 v85, s2, v73, s14
	v_add_co_ci_u32_e64 v86, s2, s15, v74, s2
	global_load_b128 v[0:3], v[0:1], off
	s_clause 0x1
	global_load_b128 v[65:68], v4, s[12:13]
	global_load_b128 v[69:72], v[69:70], off offset:3472
	global_load_b128 v[73:76], v[73:74], off
	scratch_load_b64 v[81:82], off, off offset:140 ; 8-byte Folded Reload
	v_mul_f64 v[97:98], v[35:36], v[43:44]
	v_mul_f64 v[43:44], v[33:34], v[43:44]
	;; [unrolled: 1-line block ×4, first 2 shown]
	v_fma_f64 v[4:5], v[5:6], v[13:14], v[89:90]
	v_fma_f64 v[6:7], v[7:8], v[13:14], -v[15:16]
	v_fma_f64 v[8:9], v[9:10], v[17:18], v[91:92]
	v_fma_f64 v[10:11], v[11:12], v[17:18], -v[19:20]
	;; [unrolled: 2-line block ×4, first 2 shown]
	s_waitcnt vmcnt(0)
	s_clause 0x1
	global_load_b128 v[77:80], v[81:82], off offset:1376
	global_load_b128 v[81:84], v[81:82], off offset:3376
	global_load_b128 v[85:88], v[85:86], off
	v_mul_f64 v[101:102], v[51:52], v[59:60]
	v_mul_f64 v[59:60], v[49:50], v[59:60]
	;; [unrolled: 1-line block ×6, first 2 shown]
	v_fma_f64 v[20:21], v[33:34], v[41:42], v[97:98]
	v_fma_f64 v[22:23], v[35:36], v[41:42], -v[43:44]
	v_fma_f64 v[24:25], v[45:46], v[53:54], v[99:100]
	v_fma_f64 v[26:27], v[47:48], v[53:54], -v[55:56]
	;; [unrolled: 2-line block ×5, first 2 shown]
	s_waitcnt vmcnt(2)
	v_mul_f64 v[107:108], v[75:76], v[79:80]
	v_mul_f64 v[79:80], v[73:74], v[79:80]
	s_waitcnt vmcnt(0)
	v_mul_f64 v[109:110], v[87:88], v[83:84]
	v_mul_f64 v[83:84], v[85:86], v[83:84]
	s_delay_alu instid0(VALU_DEP_4) | instskip(NEXT) | instid1(VALU_DEP_4)
	v_fma_f64 v[36:37], v[73:74], v[77:78], v[107:108]
	v_fma_f64 v[38:39], v[75:76], v[77:78], -v[79:80]
	s_delay_alu instid0(VALU_DEP_4) | instskip(NEXT) | instid1(VALU_DEP_4)
	v_fma_f64 v[40:41], v[85:86], v[81:82], v[109:110]
	v_fma_f64 v[42:43], v[87:88], v[81:82], -v[83:84]
	ds_store_b128 v200, v[4:7] offset:1760
	ds_store_b128 v200, v[8:11] offset:3760
	;; [unrolled: 1-line block ×11, first 2 shown]
.LBB0_3:
	s_or_b32 exec_lo, exec_lo, s16
	s_waitcnt lgkmcnt(0)
	s_waitcnt_vscnt null, 0x0
	s_barrier
	buffer_gl0_inv
	ds_load_b128 v[52:55], v200
	ds_load_b128 v[44:47], v200 offset:880
	ds_load_b128 v[96:99], v200 offset:2000
	;; [unrolled: 1-line block ×21, first 2 shown]
	s_load_b64 s[2:3], s[0:1], 0x8
                                        ; implicit-def: $vgpr0_vgpr1
                                        ; implicit-def: $vgpr4_vgpr5
                                        ; implicit-def: $vgpr8_vgpr9
                                        ; implicit-def: $vgpr12_vgpr13
                                        ; implicit-def: $vgpr16_vgpr17
                                        ; implicit-def: $vgpr32_vgpr33
                                        ; implicit-def: $vgpr28_vgpr29
                                        ; implicit-def: $vgpr24_vgpr25
                                        ; implicit-def: $vgpr20_vgpr21
                                        ; implicit-def: $vgpr36_vgpr37
                                        ; implicit-def: $vgpr40_vgpr41
	s_and_saveexec_b32 s0, vcc_lo
	s_cbranch_execz .LBB0_5
; %bb.4:
	ds_load_b128 v[0:3], v200 offset:1760
	ds_load_b128 v[4:7], v200 offset:3760
	;; [unrolled: 1-line block ×11, first 2 shown]
.LBB0_5:
	s_or_b32 exec_lo, exec_lo, s0
	s_waitcnt lgkmcnt(0)
	v_add_f64 v[132:133], v[52:53], v[96:97]
	v_add_f64 v[134:135], v[54:55], v[98:99]
	;; [unrolled: 1-line block ×4, first 2 shown]
	v_add_f64 v[96:97], v[96:97], -v[48:49]
	v_add_f64 v[98:99], v[98:99], -v[50:51]
	v_add_f64 v[140:141], v[88:89], v[92:93]
	v_add_f64 v[142:143], v[90:91], v[94:95]
	v_add_f64 v[154:155], v[78:79], -v[86:87]
	v_add_f64 v[152:153], v[76:77], -v[84:85]
	v_add_f64 v[144:145], v[76:77], v[84:85]
	v_add_f64 v[146:147], v[78:79], v[86:87]
	;; [unrolled: 4-line block ×4, first 2 shown]
	s_mov_b32 s26, 0xf8bb580b
	s_mov_b32 s34, 0x8eee2c13
	;; [unrolled: 1-line block ×10, first 2 shown]
	v_add_f64 v[172:173], v[56:57], -v[68:69]
	v_add_f64 v[174:175], v[58:59], -v[70:71]
	s_mov_b32 s0, 0x8764f0ba
	s_mov_b32 s18, 0xd9c712b6
	;; [unrolled: 1-line block ×6, first 2 shown]
	v_add_f64 v[132:133], v[132:133], v[104:105]
	v_add_f64 v[134:135], v[134:135], v[106:107]
	s_mov_b32 s19, 0x3fda9628
	s_mov_b32 s15, 0xbfc2375f
	;; [unrolled: 1-line block ×12, first 2 shown]
	v_add_f64 v[192:193], v[6:7], -v[42:43]
	v_add_f64 v[194:195], v[10:11], -v[38:39]
	;; [unrolled: 1-line block ×10, first 2 shown]
	v_add_f64 v[132:133], v[132:133], v[112:113]
	v_add_f64 v[134:135], v[134:135], v[114:115]
	v_mul_f64 v[186:187], v[192:193], s[34:35]
	v_mul_f64 v[190:191], v[196:197], s[34:35]
	;; [unrolled: 1-line block ×4, first 2 shown]
	v_add_f64 v[132:133], v[132:133], v[120:121]
	v_add_f64 v[134:135], v[134:135], v[122:123]
	s_delay_alu instid0(VALU_DEP_2) | instskip(NEXT) | instid1(VALU_DEP_2)
	v_add_f64 v[136:137], v[132:133], v[128:129]
	v_add_f64 v[138:139], v[134:135], v[130:131]
	v_add_f64 v[132:133], v[128:129], v[124:125]
	v_add_f64 v[134:135], v[130:131], v[126:127]
	v_add_f64 v[128:129], v[128:129], -v[124:125]
	v_add_f64 v[130:131], v[130:131], -v[126:127]
	v_add_f64 v[136:137], v[136:137], v[124:125]
	v_add_f64 v[138:139], v[138:139], v[126:127]
	v_add_f64 v[124:125], v[120:121], v[116:117]
	v_add_f64 v[126:127], v[122:123], v[118:119]
	v_add_f64 v[120:121], v[120:121], -v[116:117]
	v_add_f64 v[122:123], v[122:123], -v[118:119]
	;; [unrolled: 6-line block ×4, first 2 shown]
	v_add_f64 v[100:101], v[136:137], v[100:101]
	v_add_f64 v[102:103], v[138:139], v[102:103]
	v_add_f64 v[138:139], v[90:91], -v[94:95]
	v_add_f64 v[136:137], v[88:89], -v[92:93]
	s_delay_alu instid0(VALU_DEP_4) | instskip(NEXT) | instid1(VALU_DEP_4)
	v_add_f64 v[48:49], v[100:101], v[48:49]
	v_add_f64 v[50:51], v[102:103], v[50:51]
	;; [unrolled: 1-line block ×4, first 2 shown]
	s_delay_alu instid0(VALU_DEP_2) | instskip(NEXT) | instid1(VALU_DEP_2)
	v_add_f64 v[100:101], v[100:101], v[60:61]
	v_add_f64 v[102:103], v[102:103], v[62:63]
	s_delay_alu instid0(VALU_DEP_2) | instskip(NEXT) | instid1(VALU_DEP_2)
	v_add_f64 v[100:101], v[100:101], v[64:65]
	v_add_f64 v[102:103], v[102:103], v[66:67]
	;; [unrolled: 3-line block ×5, first 2 shown]
	v_add_f64 v[100:101], v[56:57], v[68:69]
	v_add_f64 v[102:103], v[58:59], v[70:71]
	s_delay_alu instid0(VALU_DEP_4) | instskip(NEXT) | instid1(VALU_DEP_4)
	v_add_f64 v[76:77], v[88:89], v[84:85]
	v_add_f64 v[78:79], v[90:91], v[86:87]
	v_mul_f64 v[84:85], v[96:97], s[20:21]
	v_mul_f64 v[86:87], v[96:97], s[22:23]
	;; [unrolled: 1-line block ×3, first 2 shown]
	v_add_f64 v[64:65], v[76:77], v[80:81]
	v_add_f64 v[66:67], v[78:79], v[82:83]
	v_mul_f64 v[80:81], v[96:97], s[26:27]
	v_mul_f64 v[82:83], v[96:97], s[34:35]
	v_fma_f64 v[94:95], v[170:171], s[14:15], v[84:85]
	v_fma_f64 v[84:85], v[170:171], s[14:15], -v[84:85]
	v_fma_f64 v[96:97], v[170:171], s[16:17], v[86:87]
	v_fma_f64 v[86:87], v[170:171], s[16:17], -v[86:87]
	v_add_f64 v[60:61], v[64:65], v[72:73]
	v_add_f64 v[62:63], v[66:67], v[74:75]
	v_mul_f64 v[64:65], v[98:99], s[20:21]
	v_mul_f64 v[66:67], v[98:99], s[22:23]
	v_fma_f64 v[90:91], v[170:171], s[0:1], v[80:81]
	v_fma_f64 v[80:81], v[170:171], s[0:1], -v[80:81]
	v_fma_f64 v[92:93], v[170:171], s[18:19], v[82:83]
	v_fma_f64 v[82:83], v[170:171], s[18:19], -v[82:83]
	v_add_f64 v[94:95], v[54:55], v[94:95]
	v_add_f64 v[84:85], v[54:55], v[84:85]
	;; [unrolled: 1-line block ×6, first 2 shown]
	v_mul_f64 v[60:61], v[98:99], s[26:27]
	v_mul_f64 v[62:63], v[98:99], s[34:35]
	;; [unrolled: 1-line block ×3, first 2 shown]
	v_fma_f64 v[74:75], v[168:169], s[14:15], -v[64:65]
	v_fma_f64 v[64:65], v[168:169], s[14:15], v[64:65]
	v_fma_f64 v[76:77], v[168:169], s[16:17], -v[66:67]
	v_fma_f64 v[66:67], v[168:169], s[16:17], v[66:67]
	v_fma_f64 v[98:99], v[170:171], s[8:9], v[88:89]
	v_fma_f64 v[88:89], v[170:171], s[8:9], -v[88:89]
	v_add_f64 v[90:91], v[54:55], v[90:91]
	v_add_f64 v[80:81], v[54:55], v[80:81]
	;; [unrolled: 1-line block ×4, first 2 shown]
	v_fma_f64 v[70:71], v[168:169], s[0:1], -v[60:61]
	v_fma_f64 v[60:61], v[168:169], s[0:1], v[60:61]
	v_fma_f64 v[72:73], v[168:169], s[18:19], -v[62:63]
	v_fma_f64 v[62:63], v[168:169], s[18:19], v[62:63]
	;; [unrolled: 2-line block ×3, first 2 shown]
	v_add_f64 v[74:75], v[52:53], v[74:75]
	v_add_f64 v[170:171], v[52:53], v[64:65]
	v_add_f64 v[176:177], v[52:53], v[76:77]
	v_add_f64 v[178:179], v[52:53], v[66:67]
	v_add_f64 v[98:99], v[54:55], v[98:99]
	v_add_f64 v[184:185], v[54:55], v[88:89]
	v_mul_f64 v[76:77], v[122:123], s[22:23]
	v_mul_f64 v[88:89], v[130:131], s[24:25]
	v_add_f64 v[70:71], v[52:53], v[70:71]
	v_add_f64 v[60:61], v[52:53], v[60:61]
	;; [unrolled: 1-line block ×6, first 2 shown]
	v_mul_f64 v[52:53], v[106:107], s[34:35]
	v_mul_f64 v[62:63], v[104:105], s[34:35]
	;; [unrolled: 1-line block ×4, first 2 shown]
	s_delay_alu instid0(VALU_DEP_4) | instskip(NEXT) | instid1(VALU_DEP_4)
	v_fma_f64 v[54:55], v[108:109], s[18:19], -v[52:53]
	v_fma_f64 v[64:65], v[110:111], s[18:19], v[62:63]
	s_delay_alu instid0(VALU_DEP_4) | instskip(SKIP_1) | instid1(VALU_DEP_4)
	v_fma_f64 v[66:67], v[116:117], s[14:15], -v[68:69]
	v_fma_f64 v[52:53], v[108:109], s[18:19], v[52:53]
	v_add_f64 v[54:55], v[54:55], v[70:71]
	v_mul_f64 v[70:71], v[112:113], s[20:21]
	v_add_f64 v[64:65], v[64:65], v[90:91]
	s_delay_alu instid0(VALU_DEP_4)
	v_add_f64 v[52:53], v[52:53], v[60:61]
	v_fma_f64 v[60:61], v[110:111], s[18:19], -v[62:63]
	v_fma_f64 v[62:63], v[116:117], s[14:15], v[68:69]
	v_mul_f64 v[68:69], v[106:107], s[22:23]
	v_add_f64 v[54:55], v[66:67], v[54:55]
	v_fma_f64 v[66:67], v[118:119], s[14:15], v[70:71]
	v_add_f64 v[60:61], v[60:61], v[80:81]
	v_add_f64 v[52:53], v[62:63], v[52:53]
	v_fma_f64 v[62:63], v[118:119], s[14:15], -v[70:71]
	v_mul_f64 v[70:71], v[104:105], s[22:23]
	v_add_f64 v[64:65], v[66:67], v[64:65]
	v_fma_f64 v[66:67], v[124:125], s[16:17], -v[76:77]
	s_delay_alu instid0(VALU_DEP_4) | instskip(SKIP_1) | instid1(VALU_DEP_3)
	v_add_f64 v[60:61], v[62:63], v[60:61]
	v_fma_f64 v[62:63], v[124:125], s[16:17], v[76:77]
	v_add_f64 v[54:55], v[66:67], v[54:55]
	v_fma_f64 v[66:67], v[126:127], s[16:17], v[78:79]
	s_delay_alu instid0(VALU_DEP_3) | instskip(SKIP_1) | instid1(VALU_DEP_3)
	v_add_f64 v[52:53], v[62:63], v[52:53]
	v_fma_f64 v[62:63], v[126:127], s[16:17], -v[78:79]
	v_add_f64 v[66:67], v[66:67], v[64:65]
	v_fma_f64 v[64:65], v[132:133], s[8:9], -v[88:89]
	s_delay_alu instid0(VALU_DEP_3) | instskip(SKIP_1) | instid1(VALU_DEP_3)
	v_add_f64 v[60:61], v[62:63], v[60:61]
	v_fma_f64 v[62:63], v[132:133], s[8:9], v[88:89]
	v_add_f64 v[64:65], v[64:65], v[54:55]
	v_mul_f64 v[54:55], v[128:129], s[24:25]
	s_delay_alu instid0(VALU_DEP_3) | instskip(SKIP_2) | instid1(VALU_DEP_4)
	v_add_f64 v[52:53], v[62:63], v[52:53]
	v_fma_f64 v[62:63], v[110:111], s[16:17], v[70:71]
	v_fma_f64 v[70:71], v[110:111], s[16:17], -v[70:71]
	v_fma_f64 v[90:91], v[134:135], s[8:9], v[54:55]
	v_fma_f64 v[54:55], v[134:135], s[8:9], -v[54:55]
	s_delay_alu instid0(VALU_DEP_4) | instskip(NEXT) | instid1(VALU_DEP_4)
	v_add_f64 v[62:63], v[62:63], v[92:93]
	v_add_f64 v[70:71], v[70:71], v[82:83]
	s_delay_alu instid0(VALU_DEP_4) | instskip(NEXT) | instid1(VALU_DEP_4)
	v_add_f64 v[66:67], v[90:91], v[66:67]
	v_add_f64 v[54:55], v[54:55], v[60:61]
	v_fma_f64 v[60:61], v[108:109], s[16:17], -v[68:69]
	v_fma_f64 v[68:69], v[108:109], s[16:17], v[68:69]
	s_delay_alu instid0(VALU_DEP_2) | instskip(SKIP_1) | instid1(VALU_DEP_3)
	v_add_f64 v[60:61], v[60:61], v[72:73]
	v_mul_f64 v[72:73], v[114:115], s[38:39]
	v_add_f64 v[68:69], v[68:69], v[168:169]
	s_delay_alu instid0(VALU_DEP_2) | instskip(SKIP_1) | instid1(VALU_DEP_2)
	v_fma_f64 v[76:77], v[116:117], s[8:9], -v[72:73]
	v_fma_f64 v[72:73], v[116:117], s[8:9], v[72:73]
	v_add_f64 v[60:61], v[76:77], v[60:61]
	v_mul_f64 v[76:77], v[112:113], s[38:39]
	s_delay_alu instid0(VALU_DEP_3) | instskip(NEXT) | instid1(VALU_DEP_2)
	v_add_f64 v[68:69], v[72:73], v[68:69]
	v_fma_f64 v[78:79], v[118:119], s[8:9], v[76:77]
	v_fma_f64 v[72:73], v[118:119], s[8:9], -v[76:77]
	s_delay_alu instid0(VALU_DEP_2) | instskip(SKIP_1) | instid1(VALU_DEP_3)
	v_add_f64 v[62:63], v[78:79], v[62:63]
	v_mul_f64 v[78:79], v[122:123], s[36:37]
	v_add_f64 v[70:71], v[72:73], v[70:71]
	s_delay_alu instid0(VALU_DEP_2) | instskip(SKIP_2) | instid1(VALU_DEP_3)
	v_fma_f64 v[80:81], v[124:125], s[14:15], -v[78:79]
	v_fma_f64 v[72:73], v[124:125], s[14:15], v[78:79]
	v_mul_f64 v[78:79], v[104:105], s[38:39]
	v_add_f64 v[60:61], v[80:81], v[60:61]
	v_mul_f64 v[80:81], v[120:121], s[36:37]
	s_delay_alu instid0(VALU_DEP_4) | instskip(NEXT) | instid1(VALU_DEP_2)
	v_add_f64 v[68:69], v[72:73], v[68:69]
	v_fma_f64 v[88:89], v[126:127], s[14:15], v[80:81]
	v_fma_f64 v[72:73], v[126:127], s[14:15], -v[80:81]
	v_mul_f64 v[80:81], v[114:115], s[30:31]
	s_delay_alu instid0(VALU_DEP_3) | instskip(SKIP_1) | instid1(VALU_DEP_4)
	v_add_f64 v[62:63], v[88:89], v[62:63]
	v_mul_f64 v[88:89], v[130:131], s[28:29]
	v_add_f64 v[70:71], v[72:73], v[70:71]
	s_delay_alu instid0(VALU_DEP_4) | instskip(SKIP_1) | instid1(VALU_DEP_4)
	v_fma_f64 v[82:83], v[116:117], s[18:19], -v[80:81]
	v_fma_f64 v[80:81], v[116:117], s[18:19], v[80:81]
	v_fma_f64 v[90:91], v[132:133], s[0:1], -v[88:89]
	v_fma_f64 v[72:73], v[132:133], s[0:1], v[88:89]
	s_delay_alu instid0(VALU_DEP_2) | instskip(SKIP_1) | instid1(VALU_DEP_3)
	v_add_f64 v[60:61], v[90:91], v[60:61]
	v_mul_f64 v[90:91], v[128:129], s[28:29]
	v_add_f64 v[68:69], v[72:73], v[68:69]
	s_delay_alu instid0(VALU_DEP_2) | instskip(SKIP_1) | instid1(VALU_DEP_2)
	v_fma_f64 v[76:77], v[134:135], s[0:1], -v[90:91]
	v_fma_f64 v[92:93], v[134:135], s[0:1], v[90:91]
	v_add_f64 v[70:71], v[76:77], v[70:71]
	v_mul_f64 v[76:77], v[106:107], s[38:39]
	s_delay_alu instid0(VALU_DEP_3) | instskip(NEXT) | instid1(VALU_DEP_2)
	v_add_f64 v[62:63], v[92:93], v[62:63]
	v_fma_f64 v[72:73], v[108:109], s[8:9], -v[76:77]
	v_fma_f64 v[76:77], v[108:109], s[8:9], v[76:77]
	s_delay_alu instid0(VALU_DEP_2) | instskip(SKIP_1) | instid1(VALU_DEP_3)
	v_add_f64 v[72:73], v[72:73], v[74:75]
	v_fma_f64 v[74:75], v[110:111], s[8:9], v[78:79]
	v_add_f64 v[76:77], v[76:77], v[170:171]
	v_fma_f64 v[78:79], v[110:111], s[8:9], -v[78:79]
	s_delay_alu instid0(VALU_DEP_4) | instskip(SKIP_2) | instid1(VALU_DEP_4)
	v_add_f64 v[72:73], v[82:83], v[72:73]
	v_mul_f64 v[82:83], v[112:113], s[30:31]
	v_add_f64 v[74:75], v[74:75], v[94:95]
	v_add_f64 v[78:79], v[78:79], v[84:85]
	;; [unrolled: 1-line block ×3, first 2 shown]
	v_mul_f64 v[84:85], v[106:107], s[36:37]
	v_fma_f64 v[88:89], v[118:119], s[18:19], v[82:83]
	v_fma_f64 v[80:81], v[118:119], s[18:19], -v[82:83]
	s_delay_alu instid0(VALU_DEP_2) | instskip(SKIP_1) | instid1(VALU_DEP_3)
	v_add_f64 v[74:75], v[88:89], v[74:75]
	v_mul_f64 v[88:89], v[122:123], s[26:27]
	v_add_f64 v[78:79], v[80:81], v[78:79]
	s_delay_alu instid0(VALU_DEP_2) | instskip(SKIP_2) | instid1(VALU_DEP_3)
	v_fma_f64 v[90:91], v[124:125], s[0:1], -v[88:89]
	v_fma_f64 v[80:81], v[124:125], s[0:1], v[88:89]
	v_mul_f64 v[88:89], v[104:105], s[36:37]
	v_add_f64 v[72:73], v[90:91], v[72:73]
	v_mul_f64 v[90:91], v[120:121], s[26:27]
	s_delay_alu instid0(VALU_DEP_4) | instskip(NEXT) | instid1(VALU_DEP_2)
	v_add_f64 v[76:77], v[80:81], v[76:77]
	v_fma_f64 v[92:93], v[126:127], s[0:1], v[90:91]
	v_fma_f64 v[80:81], v[126:127], s[0:1], -v[90:91]
	v_mul_f64 v[90:91], v[114:115], s[26:27]
	s_delay_alu instid0(VALU_DEP_3) | instskip(SKIP_1) | instid1(VALU_DEP_4)
	v_add_f64 v[74:75], v[92:93], v[74:75]
	v_mul_f64 v[92:93], v[130:131], s[22:23]
	v_add_f64 v[78:79], v[80:81], v[78:79]
	s_delay_alu instid0(VALU_DEP_2) | instskip(SKIP_2) | instid1(VALU_DEP_3)
	v_fma_f64 v[94:95], v[132:133], s[16:17], -v[92:93]
	v_fma_f64 v[80:81], v[132:133], s[16:17], v[92:93]
	v_fma_f64 v[92:93], v[116:117], s[0:1], -v[90:91]
	v_add_f64 v[72:73], v[94:95], v[72:73]
	v_mul_f64 v[94:95], v[128:129], s[22:23]
	s_delay_alu instid0(VALU_DEP_4) | instskip(SKIP_2) | instid1(VALU_DEP_4)
	v_add_f64 v[76:77], v[80:81], v[76:77]
	v_fma_f64 v[80:81], v[108:109], s[14:15], -v[84:85]
	v_fma_f64 v[84:85], v[108:109], s[14:15], v[84:85]
	v_fma_f64 v[82:83], v[134:135], s[16:17], -v[94:95]
	v_fma_f64 v[168:169], v[134:135], s[16:17], v[94:95]
	s_delay_alu instid0(VALU_DEP_4) | instskip(NEXT) | instid1(VALU_DEP_4)
	v_add_f64 v[80:81], v[80:81], v[176:177]
	v_add_f64 v[84:85], v[84:85], v[178:179]
	s_delay_alu instid0(VALU_DEP_4) | instskip(SKIP_1) | instid1(VALU_DEP_4)
	v_add_f64 v[78:79], v[82:83], v[78:79]
	v_fma_f64 v[82:83], v[110:111], s[14:15], v[88:89]
	v_add_f64 v[80:81], v[92:93], v[80:81]
	v_mul_f64 v[92:93], v[112:113], s[26:27]
	v_fma_f64 v[88:89], v[110:111], s[14:15], -v[88:89]
	v_add_f64 v[74:75], v[168:169], v[74:75]
	v_add_f64 v[82:83], v[82:83], v[96:97]
	s_delay_alu instid0(VALU_DEP_4) | instskip(NEXT) | instid1(VALU_DEP_4)
	v_fma_f64 v[94:95], v[118:119], s[0:1], v[92:93]
	v_add_f64 v[86:87], v[88:89], v[86:87]
	v_fma_f64 v[88:89], v[116:117], s[0:1], v[90:91]
	s_delay_alu instid0(VALU_DEP_3) | instskip(SKIP_1) | instid1(VALU_DEP_3)
	v_add_f64 v[82:83], v[94:95], v[82:83]
	v_mul_f64 v[94:95], v[122:123], s[24:25]
	v_add_f64 v[84:85], v[88:89], v[84:85]
	v_fma_f64 v[88:89], v[118:119], s[0:1], -v[92:93]
	v_mul_f64 v[92:93], v[106:107], s[28:29]
	s_delay_alu instid0(VALU_DEP_4) | instskip(NEXT) | instid1(VALU_DEP_3)
	v_fma_f64 v[96:97], v[124:125], s[8:9], -v[94:95]
	v_add_f64 v[86:87], v[88:89], v[86:87]
	v_fma_f64 v[88:89], v[124:125], s[8:9], v[94:95]
	v_mul_f64 v[94:95], v[104:105], s[28:29]
	s_delay_alu instid0(VALU_DEP_4) | instskip(SKIP_1) | instid1(VALU_DEP_4)
	v_add_f64 v[80:81], v[96:97], v[80:81]
	v_mul_f64 v[96:97], v[120:121], s[24:25]
	v_add_f64 v[84:85], v[88:89], v[84:85]
	s_delay_alu instid0(VALU_DEP_2) | instskip(SKIP_3) | instid1(VALU_DEP_4)
	v_fma_f64 v[168:169], v[126:127], s[8:9], v[96:97]
	v_fma_f64 v[88:89], v[126:127], s[8:9], -v[96:97]
	v_mul_f64 v[96:97], v[114:115], s[22:23]
	v_mul_f64 v[114:115], v[128:129], s[20:21]
	v_add_f64 v[82:83], v[168:169], v[82:83]
	v_mul_f64 v[168:169], v[130:131], s[30:31]
	v_add_f64 v[86:87], v[88:89], v[86:87]
	s_delay_alu instid0(VALU_DEP_2) | instskip(SKIP_1) | instid1(VALU_DEP_2)
	v_fma_f64 v[170:171], v[132:133], s[18:19], -v[168:169]
	v_fma_f64 v[88:89], v[132:133], s[18:19], v[168:169]
	v_add_f64 v[80:81], v[170:171], v[80:81]
	v_mul_f64 v[170:171], v[128:129], s[30:31]
	s_delay_alu instid0(VALU_DEP_3)
	v_add_f64 v[84:85], v[88:89], v[84:85]
	v_fma_f64 v[88:89], v[108:109], s[0:1], -v[92:93]
	v_fma_f64 v[92:93], v[108:109], s[0:1], v[92:93]
	v_mul_f64 v[108:109], v[174:175], s[24:25]
	v_fma_f64 v[90:91], v[134:135], s[18:19], -v[170:171]
	v_fma_f64 v[176:177], v[134:135], s[18:19], v[170:171]
	v_add_f64 v[88:89], v[88:89], v[180:181]
	v_add_f64 v[92:93], v[92:93], v[182:183]
	v_mul_f64 v[182:183], v[203:204], s[38:39]
	v_add_f64 v[86:87], v[90:91], v[86:87]
	v_fma_f64 v[90:91], v[110:111], s[0:1], v[94:95]
	v_fma_f64 v[94:95], v[110:111], s[0:1], -v[94:95]
	v_add_f64 v[82:83], v[176:177], v[82:83]
	s_delay_alu instid0(VALU_DEP_3) | instskip(SKIP_4) | instid1(VALU_DEP_4)
	v_add_f64 v[90:91], v[90:91], v[98:99]
	v_fma_f64 v[98:99], v[116:117], s[16:17], -v[96:97]
	v_fma_f64 v[96:97], v[116:117], s[16:17], v[96:97]
	v_add_f64 v[94:95], v[94:95], v[184:185]
	v_mul_f64 v[184:185], v[194:195], s[22:23]
	v_add_f64 v[88:89], v[98:99], v[88:89]
	v_mul_f64 v[98:99], v[112:113], s[22:23]
	v_add_f64 v[92:93], v[96:97], v[92:93]
	s_delay_alu instid0(VALU_DEP_2) | instskip(SKIP_2) | instid1(VALU_DEP_3)
	v_fma_f64 v[104:105], v[118:119], s[16:17], v[98:99]
	v_fma_f64 v[98:99], v[118:119], s[16:17], -v[98:99]
	v_fma_f64 v[118:119], v[100:101], s[8:9], -v[108:109]
	v_add_f64 v[90:91], v[104:105], v[90:91]
	v_mul_f64 v[104:105], v[122:123], s[30:31]
	s_delay_alu instid0(VALU_DEP_4) | instskip(SKIP_2) | instid1(VALU_DEP_4)
	v_add_f64 v[94:95], v[98:99], v[94:95]
	v_fma_f64 v[98:99], v[134:135], s[14:15], -v[114:115]
	v_mul_f64 v[122:123], v[172:173], s[20:21]
	v_fma_f64 v[106:107], v[124:125], s[18:19], -v[104:105]
	v_fma_f64 v[104:105], v[124:125], s[18:19], v[104:105]
	v_mul_f64 v[124:125], v[172:173], s[22:23]
	s_delay_alu instid0(VALU_DEP_3) | instskip(SKIP_1) | instid1(VALU_DEP_4)
	v_add_f64 v[88:89], v[106:107], v[88:89]
	v_mul_f64 v[106:107], v[120:121], s[30:31]
	v_add_f64 v[92:93], v[104:105], v[92:93]
	v_mul_f64 v[104:105], v[174:175], s[20:21]
	s_delay_alu instid0(VALU_DEP_3) | instskip(SKIP_2) | instid1(VALU_DEP_3)
	v_fma_f64 v[112:113], v[126:127], s[18:19], v[106:107]
	v_fma_f64 v[106:107], v[126:127], s[18:19], -v[106:107]
	v_mul_f64 v[126:127], v[172:173], s[24:25]
	v_add_f64 v[90:91], v[112:113], v[90:91]
	v_mul_f64 v[112:113], v[130:131], s[20:21]
	s_delay_alu instid0(VALU_DEP_4) | instskip(SKIP_2) | instid1(VALU_DEP_4)
	v_add_f64 v[94:95], v[106:107], v[94:95]
	v_mul_f64 v[106:107], v[174:175], s[22:23]
	v_fma_f64 v[168:169], v[102:103], s[8:9], v[126:127]
	v_fma_f64 v[120:121], v[132:133], s[14:15], -v[112:113]
	v_fma_f64 v[96:97], v[132:133], s[14:15], v[112:113]
	v_add_f64 v[94:95], v[98:99], v[94:95]
	v_mul_f64 v[98:99], v[174:175], s[34:35]
	v_fma_f64 v[116:117], v[100:101], s[16:17], -v[106:107]
	v_fma_f64 v[106:107], v[100:101], s[16:17], v[106:107]
	v_fma_f64 v[132:133], v[102:103], s[14:15], v[122:123]
	v_fma_f64 v[122:123], v[102:103], s[14:15], -v[122:123]
	v_add_f64 v[168:169], v[46:47], v[168:169]
	v_add_f64 v[88:89], v[120:121], v[88:89]
	v_fma_f64 v[120:121], v[134:135], s[14:15], v[114:115]
	v_add_f64 v[92:93], v[96:97], v[92:93]
	v_mul_f64 v[96:97], v[174:175], s[26:27]
	v_fma_f64 v[112:113], v[100:101], s[18:19], -v[98:99]
	v_fma_f64 v[98:99], v[100:101], s[18:19], v[98:99]
	v_fma_f64 v[114:115], v[100:101], s[14:15], -v[104:105]
	v_fma_f64 v[104:105], v[100:101], s[14:15], v[104:105]
	v_fma_f64 v[134:135], v[102:103], s[16:17], v[124:125]
	v_fma_f64 v[124:125], v[102:103], s[16:17], -v[124:125]
	v_add_f64 v[116:117], v[44:45], v[116:117]
	v_add_f64 v[174:175], v[44:45], v[118:119]
	;; [unrolled: 1-line block ×5, first 2 shown]
	v_mul_f64 v[120:121], v[172:173], s[34:35]
	v_fma_f64 v[110:111], v[100:101], s[0:1], -v[96:97]
	v_fma_f64 v[96:97], v[100:101], s[0:1], v[96:97]
	v_fma_f64 v[100:101], v[100:101], s[8:9], v[108:109]
	v_mul_f64 v[108:109], v[172:173], s[26:27]
	v_add_f64 v[112:113], v[44:45], v[112:113]
	v_add_f64 v[114:115], v[44:45], v[114:115]
	;; [unrolled: 1-line block ×6, first 2 shown]
	v_fma_f64 v[130:131], v[102:103], s[18:19], v[120:121]
	v_fma_f64 v[120:121], v[102:103], s[18:19], -v[120:121]
	v_add_f64 v[110:111], v[44:45], v[110:111]
	v_add_f64 v[96:97], v[44:45], v[96:97]
	v_fma_f64 v[128:129], v[102:103], s[0:1], v[108:109]
	v_fma_f64 v[108:109], v[102:103], s[0:1], -v[108:109]
	v_fma_f64 v[102:103], v[102:103], s[8:9], -v[126:127]
	v_add_f64 v[176:177], v[44:45], v[100:101]
	v_mul_f64 v[100:101], v[164:165], s[34:35]
	v_add_f64 v[120:121], v[46:47], v[120:121]
	v_add_f64 v[126:127], v[46:47], v[128:129]
	;; [unrolled: 1-line block ×4, first 2 shown]
	v_mul_f64 v[98:99], v[166:167], s[34:35]
	v_add_f64 v[178:179], v[46:47], v[102:103]
	v_mul_f64 v[102:103], v[162:163], s[20:21]
	v_add_f64 v[108:109], v[46:47], v[108:109]
	v_fma_f64 v[46:47], v[158:159], s[18:19], v[100:101]
	v_fma_f64 v[44:45], v[156:157], s[18:19], -v[98:99]
	v_fma_f64 v[98:99], v[156:157], s[18:19], v[98:99]
	v_fma_f64 v[104:105], v[148:149], s[14:15], -v[102:103]
	s_delay_alu instid0(VALU_DEP_4) | instskip(NEXT) | instid1(VALU_DEP_4)
	v_add_f64 v[46:47], v[46:47], v[126:127]
	v_add_f64 v[44:45], v[44:45], v[110:111]
	s_delay_alu instid0(VALU_DEP_4) | instskip(SKIP_2) | instid1(VALU_DEP_4)
	v_add_f64 v[96:97], v[98:99], v[96:97]
	v_fma_f64 v[98:99], v[158:159], s[18:19], -v[100:101]
	v_fma_f64 v[100:101], v[148:149], s[14:15], v[102:103]
	v_add_f64 v[44:45], v[104:105], v[44:45]
	v_mul_f64 v[104:105], v[160:161], s[20:21]
	s_delay_alu instid0(VALU_DEP_4) | instskip(NEXT) | instid1(VALU_DEP_4)
	v_add_f64 v[98:99], v[98:99], v[108:109]
	v_add_f64 v[96:97], v[100:101], v[96:97]
	v_mul_f64 v[108:109], v[162:163], s[38:39]
	s_delay_alu instid0(VALU_DEP_4) | instskip(SKIP_2) | instid1(VALU_DEP_3)
	v_fma_f64 v[106:107], v[150:151], s[14:15], v[104:105]
	v_fma_f64 v[100:101], v[150:151], s[14:15], -v[104:105]
	v_mul_f64 v[104:105], v[166:167], s[22:23]
	v_add_f64 v[46:47], v[106:107], v[46:47]
	v_mul_f64 v[106:107], v[154:155], s[22:23]
	s_delay_alu instid0(VALU_DEP_4) | instskip(NEXT) | instid1(VALU_DEP_2)
	v_add_f64 v[98:99], v[100:101], v[98:99]
	v_fma_f64 v[110:111], v[144:145], s[16:17], -v[106:107]
	v_fma_f64 v[100:101], v[144:145], s[16:17], v[106:107]
	v_mul_f64 v[106:107], v[164:165], s[22:23]
	s_delay_alu instid0(VALU_DEP_3) | instskip(SKIP_1) | instid1(VALU_DEP_4)
	v_add_f64 v[44:45], v[110:111], v[44:45]
	v_mul_f64 v[110:111], v[152:153], s[22:23]
	v_add_f64 v[96:97], v[100:101], v[96:97]
	s_delay_alu instid0(VALU_DEP_2) | instskip(SKIP_3) | instid1(VALU_DEP_4)
	v_fma_f64 v[118:119], v[146:147], s[16:17], v[110:111]
	v_fma_f64 v[100:101], v[146:147], s[16:17], -v[110:111]
	v_fma_f64 v[110:111], v[148:149], s[8:9], -v[108:109]
	v_fma_f64 v[108:109], v[148:149], s[8:9], v[108:109]
	v_add_f64 v[46:47], v[118:119], v[46:47]
	v_mul_f64 v[118:119], v[138:139], s[24:25]
	v_add_f64 v[98:99], v[100:101], v[98:99]
	s_delay_alu instid0(VALU_DEP_2) | instskip(SKIP_1) | instid1(VALU_DEP_2)
	v_fma_f64 v[126:127], v[140:141], s[8:9], -v[118:119]
	v_fma_f64 v[100:101], v[140:141], s[8:9], v[118:119]
	v_add_f64 v[44:45], v[126:127], v[44:45]
	v_mul_f64 v[126:127], v[136:137], s[24:25]
	s_delay_alu instid0(VALU_DEP_3) | instskip(SKIP_2) | instid1(VALU_DEP_4)
	v_add_f64 v[96:97], v[100:101], v[96:97]
	v_fma_f64 v[100:101], v[156:157], s[16:17], -v[104:105]
	v_fma_f64 v[104:105], v[156:157], s[16:17], v[104:105]
	v_fma_f64 v[102:103], v[142:143], s[8:9], -v[126:127]
	v_fma_f64 v[180:181], v[142:143], s[8:9], v[126:127]
	s_delay_alu instid0(VALU_DEP_4) | instskip(NEXT) | instid1(VALU_DEP_4)
	v_add_f64 v[100:101], v[100:101], v[112:113]
	v_add_f64 v[104:105], v[104:105], v[130:131]
	s_delay_alu instid0(VALU_DEP_4) | instskip(SKIP_1) | instid1(VALU_DEP_4)
	v_add_f64 v[98:99], v[102:103], v[98:99]
	v_fma_f64 v[102:103], v[158:159], s[16:17], v[106:107]
	v_add_f64 v[100:101], v[110:111], v[100:101]
	v_mul_f64 v[110:111], v[160:161], s[38:39]
	v_fma_f64 v[106:107], v[158:159], s[16:17], -v[106:107]
	v_add_f64 v[104:105], v[108:109], v[104:105]
	v_add_f64 v[46:47], v[180:181], v[46:47]
	;; [unrolled: 1-line block ×3, first 2 shown]
	v_fma_f64 v[112:113], v[150:151], s[8:9], v[110:111]
	v_add_f64 v[106:107], v[106:107], v[120:121]
	v_fma_f64 v[108:109], v[150:151], s[8:9], -v[110:111]
	s_delay_alu instid0(VALU_DEP_3) | instskip(SKIP_1) | instid1(VALU_DEP_3)
	v_add_f64 v[102:103], v[112:113], v[102:103]
	v_mul_f64 v[112:113], v[154:155], s[36:37]
	v_add_f64 v[106:107], v[108:109], v[106:107]
	s_delay_alu instid0(VALU_DEP_2) | instskip(SKIP_2) | instid1(VALU_DEP_3)
	v_fma_f64 v[118:119], v[144:145], s[14:15], -v[112:113]
	v_fma_f64 v[108:109], v[144:145], s[14:15], v[112:113]
	v_mul_f64 v[112:113], v[166:167], s[38:39]
	v_add_f64 v[100:101], v[118:119], v[100:101]
	v_mul_f64 v[118:119], v[152:153], s[36:37]
	s_delay_alu instid0(VALU_DEP_4) | instskip(NEXT) | instid1(VALU_DEP_2)
	v_add_f64 v[104:105], v[108:109], v[104:105]
	v_fma_f64 v[126:127], v[146:147], s[14:15], v[118:119]
	v_fma_f64 v[108:109], v[146:147], s[14:15], -v[118:119]
	v_mul_f64 v[118:119], v[162:163], s[30:31]
	s_delay_alu instid0(VALU_DEP_3) | instskip(SKIP_1) | instid1(VALU_DEP_4)
	v_add_f64 v[102:103], v[126:127], v[102:103]
	v_mul_f64 v[126:127], v[138:139], s[28:29]
	v_add_f64 v[106:107], v[108:109], v[106:107]
	s_delay_alu instid0(VALU_DEP_4) | instskip(SKIP_1) | instid1(VALU_DEP_4)
	v_fma_f64 v[120:121], v[148:149], s[18:19], -v[118:119]
	v_fma_f64 v[118:119], v[148:149], s[18:19], v[118:119]
	v_fma_f64 v[128:129], v[140:141], s[0:1], -v[126:127]
	v_fma_f64 v[108:109], v[140:141], s[0:1], v[126:127]
	s_delay_alu instid0(VALU_DEP_2) | instskip(SKIP_1) | instid1(VALU_DEP_3)
	v_add_f64 v[100:101], v[128:129], v[100:101]
	v_mul_f64 v[128:129], v[136:137], s[28:29]
	v_add_f64 v[104:105], v[108:109], v[104:105]
	v_fma_f64 v[108:109], v[156:157], s[8:9], -v[112:113]
	v_fma_f64 v[112:113], v[156:157], s[8:9], v[112:113]
	s_delay_alu instid0(VALU_DEP_4) | instskip(SKIP_1) | instid1(VALU_DEP_4)
	v_fma_f64 v[110:111], v[142:143], s[0:1], -v[128:129]
	v_fma_f64 v[180:181], v[142:143], s[0:1], v[128:129]
	v_add_f64 v[108:109], v[108:109], v[114:115]
	v_mul_f64 v[114:115], v[164:165], s[38:39]
	v_add_f64 v[112:113], v[112:113], v[170:171]
	v_add_f64 v[106:107], v[110:111], v[106:107]
	;; [unrolled: 1-line block ×4, first 2 shown]
	v_fma_f64 v[110:111], v[158:159], s[8:9], v[114:115]
	v_mul_f64 v[120:121], v[160:161], s[30:31]
	v_fma_f64 v[114:115], v[158:159], s[8:9], -v[114:115]
	v_add_f64 v[112:113], v[118:119], v[112:113]
	s_delay_alu instid0(VALU_DEP_4) | instskip(NEXT) | instid1(VALU_DEP_4)
	v_add_f64 v[110:111], v[110:111], v[132:133]
	v_fma_f64 v[126:127], v[150:151], s[18:19], v[120:121]
	s_delay_alu instid0(VALU_DEP_4) | instskip(SKIP_2) | instid1(VALU_DEP_4)
	v_add_f64 v[114:115], v[114:115], v[122:123]
	v_fma_f64 v[118:119], v[150:151], s[18:19], -v[120:121]
	v_mul_f64 v[122:123], v[164:165], s[36:37]
	v_add_f64 v[110:111], v[126:127], v[110:111]
	v_mul_f64 v[126:127], v[154:155], s[26:27]
	s_delay_alu instid0(VALU_DEP_4) | instskip(NEXT) | instid1(VALU_DEP_2)
	v_add_f64 v[114:115], v[118:119], v[114:115]
	v_fma_f64 v[128:129], v[144:145], s[0:1], -v[126:127]
	v_fma_f64 v[118:119], v[144:145], s[0:1], v[126:127]
	v_mul_f64 v[126:127], v[162:163], s[26:27]
	s_delay_alu instid0(VALU_DEP_3) | instskip(SKIP_1) | instid1(VALU_DEP_4)
	v_add_f64 v[108:109], v[128:129], v[108:109]
	v_mul_f64 v[128:129], v[152:153], s[26:27]
	v_add_f64 v[112:113], v[118:119], v[112:113]
	s_delay_alu instid0(VALU_DEP_2) | instskip(SKIP_2) | instid1(VALU_DEP_3)
	v_fma_f64 v[130:131], v[146:147], s[0:1], v[128:129]
	v_fma_f64 v[118:119], v[146:147], s[0:1], -v[128:129]
	v_fma_f64 v[128:129], v[148:149], s[0:1], -v[126:127]
	v_add_f64 v[110:111], v[130:131], v[110:111]
	v_mul_f64 v[130:131], v[138:139], s[22:23]
	s_delay_alu instid0(VALU_DEP_4) | instskip(NEXT) | instid1(VALU_DEP_2)
	v_add_f64 v[114:115], v[118:119], v[114:115]
	v_fma_f64 v[132:133], v[140:141], s[16:17], -v[130:131]
	v_fma_f64 v[118:119], v[140:141], s[16:17], v[130:131]
	s_delay_alu instid0(VALU_DEP_2) | instskip(SKIP_1) | instid1(VALU_DEP_3)
	v_add_f64 v[108:109], v[132:133], v[108:109]
	v_mul_f64 v[132:133], v[136:137], s[22:23]
	v_add_f64 v[112:113], v[118:119], v[112:113]
	s_delay_alu instid0(VALU_DEP_2) | instskip(SKIP_1) | instid1(VALU_DEP_2)
	v_fma_f64 v[120:121], v[142:143], s[16:17], -v[132:133]
	v_fma_f64 v[180:181], v[142:143], s[16:17], v[132:133]
	v_add_f64 v[114:115], v[120:121], v[114:115]
	v_mul_f64 v[120:121], v[166:167], s[36:37]
	s_delay_alu instid0(VALU_DEP_3) | instskip(NEXT) | instid1(VALU_DEP_2)
	v_add_f64 v[110:111], v[180:181], v[110:111]
	v_fma_f64 v[118:119], v[156:157], s[14:15], -v[120:121]
	v_fma_f64 v[120:121], v[156:157], s[14:15], v[120:121]
	s_delay_alu instid0(VALU_DEP_2) | instskip(SKIP_2) | instid1(VALU_DEP_4)
	v_add_f64 v[116:117], v[118:119], v[116:117]
	v_fma_f64 v[118:119], v[158:159], s[14:15], v[122:123]
	v_fma_f64 v[122:123], v[158:159], s[14:15], -v[122:123]
	v_add_f64 v[120:121], v[120:121], v[172:173]
	s_delay_alu instid0(VALU_DEP_4) | instskip(SKIP_4) | instid1(VALU_DEP_4)
	v_add_f64 v[116:117], v[128:129], v[116:117]
	v_mul_f64 v[128:129], v[160:161], s[26:27]
	v_add_f64 v[118:119], v[118:119], v[134:135]
	v_add_f64 v[122:123], v[122:123], v[124:125]
	v_fma_f64 v[124:125], v[148:149], s[0:1], v[126:127]
	v_fma_f64 v[130:131], v[150:151], s[0:1], v[128:129]
	s_delay_alu instid0(VALU_DEP_2)
	v_add_f64 v[120:121], v[124:125], v[120:121]
	v_fma_f64 v[124:125], v[150:151], s[0:1], -v[128:129]
	v_mul_f64 v[128:129], v[166:167], s[28:29]
	v_add_f64 v[166:167], v[18:19], v[26:27]
	v_add_f64 v[118:119], v[130:131], v[118:119]
	v_mul_f64 v[130:131], v[154:155], s[24:25]
	v_mul_f64 v[154:155], v[154:155], s[30:31]
	v_add_f64 v[122:123], v[124:125], v[122:123]
	s_delay_alu instid0(VALU_DEP_3) | instskip(SKIP_2) | instid1(VALU_DEP_3)
	v_fma_f64 v[132:133], v[144:145], s[8:9], -v[130:131]
	v_fma_f64 v[124:125], v[144:145], s[8:9], v[130:131]
	v_mul_f64 v[130:131], v[164:165], s[28:29]
	v_add_f64 v[116:117], v[132:133], v[116:117]
	v_mul_f64 v[132:133], v[152:153], s[24:25]
	s_delay_alu instid0(VALU_DEP_4) | instskip(SKIP_1) | instid1(VALU_DEP_3)
	v_add_f64 v[120:121], v[124:125], v[120:121]
	v_mul_f64 v[152:153], v[152:153], s[30:31]
	v_fma_f64 v[134:135], v[146:147], s[8:9], v[132:133]
	v_fma_f64 v[124:125], v[146:147], s[8:9], -v[132:133]
	v_mul_f64 v[132:133], v[162:163], s[22:23]
	s_delay_alu instid0(VALU_DEP_3) | instskip(SKIP_1) | instid1(VALU_DEP_4)
	v_add_f64 v[118:119], v[134:135], v[118:119]
	v_mul_f64 v[134:135], v[138:139], s[30:31]
	v_add_f64 v[122:123], v[124:125], v[122:123]
	v_mul_f64 v[138:139], v[138:139], s[20:21]
	s_delay_alu instid0(VALU_DEP_3)
	v_fma_f64 v[170:171], v[140:141], s[18:19], -v[134:135]
	v_fma_f64 v[124:125], v[140:141], s[18:19], v[134:135]
	v_fma_f64 v[134:135], v[148:149], s[16:17], -v[132:133]
	v_fma_f64 v[132:133], v[148:149], s[16:17], v[132:133]
	v_add_f64 v[148:149], v[10:11], v[38:39]
	v_add_f64 v[116:117], v[170:171], v[116:117]
	v_mul_f64 v[170:171], v[136:137], s[30:31]
	v_add_f64 v[120:121], v[124:125], v[120:121]
	v_fma_f64 v[124:125], v[156:157], s[0:1], -v[128:129]
	v_fma_f64 v[128:129], v[156:157], s[0:1], v[128:129]
	v_mul_f64 v[136:137], v[136:137], s[20:21]
	v_fma_f64 v[225:226], v[148:149], s[8:9], v[223:224]
	v_fma_f64 v[126:127], v[142:143], s[18:19], -v[170:171]
	v_fma_f64 v[180:181], v[142:143], s[18:19], v[170:171]
	v_add_f64 v[124:125], v[124:125], v[174:175]
	v_add_f64 v[128:129], v[128:129], v[176:177]
	s_delay_alu instid0(VALU_DEP_4) | instskip(SKIP_1) | instid1(VALU_DEP_4)
	v_add_f64 v[122:123], v[126:127], v[122:123]
	v_fma_f64 v[126:127], v[158:159], s[0:1], v[130:131]
	v_add_f64 v[124:125], v[134:135], v[124:125]
	v_mul_f64 v[134:135], v[160:161], s[22:23]
	v_fma_f64 v[130:131], v[158:159], s[0:1], -v[130:131]
	v_add_f64 v[128:129], v[132:133], v[128:129]
	v_fma_f64 v[132:133], v[144:145], s[18:19], v[154:155]
	v_add_f64 v[158:159], v[14:15], v[22:23]
	v_add_f64 v[118:119], v[180:181], v[118:119]
	v_mul_f64 v[180:181], v[201:202], s[38:39]
	v_add_f64 v[126:127], v[126:127], v[168:169]
	v_fma_f64 v[160:161], v[150:151], s[16:17], v[134:135]
	v_add_f64 v[130:131], v[130:131], v[178:179]
	v_fma_f64 v[134:135], v[150:151], s[16:17], -v[134:135]
	v_add_f64 v[128:129], v[132:133], v[128:129]
	v_fma_f64 v[132:133], v[140:141], s[14:15], v[138:139]
	v_add_f64 v[150:151], v[6:7], v[42:43]
	v_add_f64 v[126:127], v[160:161], v[126:127]
	v_fma_f64 v[160:161], v[144:145], s[18:19], -v[154:155]
	v_add_f64 v[130:131], v[134:135], v[130:131]
	v_fma_f64 v[134:135], v[146:147], s[18:19], -v[152:153]
	v_add_f64 v[128:129], v[132:133], v[128:129]
	v_mul_f64 v[144:145], v[196:197], s[26:27]
	v_add_f64 v[124:125], v[160:161], v[124:125]
	v_fma_f64 v[160:161], v[146:147], s[18:19], v[152:153]
	v_add_f64 v[130:131], v[134:135], v[130:131]
	v_fma_f64 v[134:135], v[142:143], s[14:15], -v[136:137]
	s_delay_alu instid0(VALU_DEP_3) | instskip(SKIP_1) | instid1(VALU_DEP_3)
	v_add_f64 v[126:127], v[160:161], v[126:127]
	v_fma_f64 v[160:161], v[140:141], s[14:15], -v[138:139]
	v_add_f64 v[130:131], v[134:135], v[130:131]
	v_mul_f64 v[134:135], v[192:193], s[26:27]
	v_add_f64 v[138:139], v[8:9], v[36:37]
	s_delay_alu instid0(VALU_DEP_4) | instskip(SKIP_2) | instid1(VALU_DEP_2)
	v_add_f64 v[124:125], v[160:161], v[124:125]
	v_fma_f64 v[160:161], v[142:143], s[14:15], v[136:137]
	v_add_f64 v[136:137], v[4:5], v[40:41]
	v_add_f64 v[126:127], v[160:161], v[126:127]
	s_delay_alu instid0(VALU_DEP_2) | instskip(NEXT) | instid1(VALU_DEP_1)
	v_fma_f64 v[132:133], v[136:137], s[0:1], v[134:135]
	v_add_f64 v[140:141], v[0:1], v[132:133]
	v_mul_f64 v[132:133], v[194:195], s[34:35]
	s_delay_alu instid0(VALU_DEP_1) | instskip(NEXT) | instid1(VALU_DEP_1)
	v_fma_f64 v[142:143], v[138:139], s[18:19], v[132:133]
	v_add_f64 v[152:153], v[142:143], v[140:141]
	v_fma_f64 v[140:141], v[150:151], s[0:1], -v[144:145]
	v_mul_f64 v[142:143], v[198:199], s[34:35]
	s_delay_alu instid0(VALU_DEP_2) | instskip(NEXT) | instid1(VALU_DEP_2)
	v_add_f64 v[140:141], v[2:3], v[140:141]
	v_fma_f64 v[146:147], v[148:149], s[18:19], -v[142:143]
	s_delay_alu instid0(VALU_DEP_1) | instskip(SKIP_2) | instid1(VALU_DEP_1)
	v_add_f64 v[156:157], v[146:147], v[140:141]
	v_add_f64 v[146:147], v[12:13], v[20:21]
	v_mul_f64 v[140:141], v[201:202], s[20:21]
	v_fma_f64 v[154:155], v[146:147], s[14:15], v[140:141]
	s_delay_alu instid0(VALU_DEP_1) | instskip(SKIP_1) | instid1(VALU_DEP_1)
	v_add_f64 v[160:161], v[154:155], v[152:153]
	v_mul_f64 v[154:155], v[203:204], s[20:21]
	v_fma_f64 v[152:153], v[158:159], s[14:15], -v[154:155]
	s_delay_alu instid0(VALU_DEP_1) | instskip(SKIP_2) | instid1(VALU_DEP_1)
	v_add_f64 v[162:163], v[152:153], v[156:157]
	v_add_f64 v[156:157], v[16:17], v[24:25]
	v_mul_f64 v[152:153], v[205:206], s[22:23]
	v_fma_f64 v[164:165], v[156:157], s[16:17], v[152:153]
	s_delay_alu instid0(VALU_DEP_1) | instskip(SKIP_1) | instid1(VALU_DEP_1)
	v_add_f64 v[168:169], v[164:165], v[160:161]
	v_mul_f64 v[160:161], v[207:208], s[22:23]
	v_fma_f64 v[164:165], v[166:167], s[16:17], -v[160:161]
	s_delay_alu instid0(VALU_DEP_1) | instskip(SKIP_2) | instid1(VALU_DEP_1)
	v_add_f64 v[172:173], v[164:165], v[162:163]
	v_add_f64 v[164:165], v[32:33], v[28:29]
	v_mul_f64 v[162:163], v[209:210], s[24:25]
	v_fma_f64 v[170:171], v[164:165], s[8:9], v[162:163]
	s_delay_alu instid0(VALU_DEP_1) | instskip(SKIP_2) | instid1(VALU_DEP_1)
	v_add_f64 v[176:177], v[170:171], v[168:169]
	v_add_f64 v[170:171], v[34:35], v[30:31]
	v_mul_f64 v[168:169], v[211:212], s[24:25]
	v_fma_f64 v[174:175], v[170:171], s[8:9], -v[168:169]
	s_delay_alu instid0(VALU_DEP_1)
	v_add_f64 v[178:179], v[174:175], v[172:173]
	v_fma_f64 v[172:173], v[136:137], s[18:19], v[186:187]
	v_fma_f64 v[174:175], v[138:139], s[16:17], v[184:185]
	scratch_store_b128 off, v[176:179], off offset:4 ; 16-byte Folded Spill
	v_add_f64 v[172:173], v[0:1], v[172:173]
	v_fma_f64 v[176:177], v[148:149], s[16:17], -v[188:189]
	s_delay_alu instid0(VALU_DEP_2) | instskip(SKIP_1) | instid1(VALU_DEP_1)
	v_add_f64 v[172:173], v[174:175], v[172:173]
	v_fma_f64 v[174:175], v[150:151], s[18:19], -v[190:191]
	v_add_f64 v[174:175], v[2:3], v[174:175]
	s_delay_alu instid0(VALU_DEP_1) | instskip(SKIP_1) | instid1(VALU_DEP_1)
	v_add_f64 v[174:175], v[176:177], v[174:175]
	v_fma_f64 v[176:177], v[146:147], s[8:9], v[180:181]
	v_add_f64 v[172:173], v[176:177], v[172:173]
	v_fma_f64 v[176:177], v[158:159], s[8:9], -v[182:183]
	s_delay_alu instid0(VALU_DEP_1) | instskip(SKIP_1) | instid1(VALU_DEP_1)
	v_add_f64 v[176:177], v[176:177], v[174:175]
	v_mul_f64 v[174:175], v[205:206], s[36:37]
	v_fma_f64 v[178:179], v[156:157], s[14:15], v[174:175]
	s_delay_alu instid0(VALU_DEP_1) | instskip(SKIP_1) | instid1(VALU_DEP_1)
	v_add_f64 v[213:214], v[178:179], v[172:173]
	v_mul_f64 v[178:179], v[207:208], s[36:37]
	v_fma_f64 v[172:173], v[166:167], s[14:15], -v[178:179]
	s_delay_alu instid0(VALU_DEP_1) | instskip(SKIP_1) | instid1(VALU_DEP_1)
	v_add_f64 v[215:216], v[172:173], v[176:177]
	v_mul_f64 v[172:173], v[209:210], s[28:29]
	v_fma_f64 v[176:177], v[164:165], s[0:1], v[172:173]
	s_delay_alu instid0(VALU_DEP_1) | instskip(SKIP_1) | instid1(VALU_DEP_1)
	v_add_f64 v[217:218], v[176:177], v[213:214]
	v_mul_f64 v[176:177], v[211:212], s[28:29]
	v_fma_f64 v[213:214], v[170:171], s[0:1], -v[176:177]
	s_delay_alu instid0(VALU_DEP_1)
	v_add_f64 v[219:220], v[213:214], v[215:216]
	v_mul_f64 v[213:214], v[192:193], s[20:21]
	scratch_store_b128 off, v[217:220], off offset:20 ; 16-byte Folded Spill
	v_fma_f64 v[215:216], v[136:137], s[14:15], -v[213:214]
	v_mul_f64 v[217:218], v[194:195], s[38:39]
	v_fma_f64 v[213:214], v[136:137], s[14:15], v[213:214]
	s_delay_alu instid0(VALU_DEP_3) | instskip(NEXT) | instid1(VALU_DEP_3)
	v_add_f64 v[215:216], v[0:1], v[215:216]
	v_fma_f64 v[219:220], v[138:139], s[8:9], -v[217:218]
	s_delay_alu instid0(VALU_DEP_3) | instskip(SKIP_1) | instid1(VALU_DEP_3)
	v_add_f64 v[213:214], v[0:1], v[213:214]
	v_fma_f64 v[217:218], v[138:139], s[8:9], v[217:218]
	v_add_f64 v[215:216], v[219:220], v[215:216]
	v_mul_f64 v[219:220], v[196:197], s[20:21]
	s_delay_alu instid0(VALU_DEP_3) | instskip(NEXT) | instid1(VALU_DEP_2)
	v_add_f64 v[213:214], v[217:218], v[213:214]
	v_fma_f64 v[221:222], v[150:151], s[14:15], v[219:220]
	v_fma_f64 v[217:218], v[150:151], s[14:15], -v[219:220]
	v_fma_f64 v[219:220], v[148:149], s[8:9], -v[223:224]
	v_mul_f64 v[223:224], v[198:199], s[36:37]
	v_mul_f64 v[198:199], v[198:199], s[28:29]
	v_add_f64 v[221:222], v[2:3], v[221:222]
	v_add_f64 v[217:218], v[2:3], v[217:218]
	s_delay_alu instid0(VALU_DEP_2) | instskip(SKIP_1) | instid1(VALU_DEP_3)
	v_add_f64 v[221:222], v[225:226], v[221:222]
	v_mul_f64 v[225:226], v[201:202], s[30:31]
	v_add_f64 v[217:218], v[219:220], v[217:218]
	s_delay_alu instid0(VALU_DEP_2) | instskip(SKIP_2) | instid1(VALU_DEP_3)
	v_fma_f64 v[227:228], v[146:147], s[18:19], -v[225:226]
	v_fma_f64 v[219:220], v[146:147], s[18:19], v[225:226]
	v_fma_f64 v[225:226], v[148:149], s[14:15], v[223:224]
	v_add_f64 v[215:216], v[227:228], v[215:216]
	v_mul_f64 v[227:228], v[203:204], s[30:31]
	s_delay_alu instid0(VALU_DEP_4) | instskip(NEXT) | instid1(VALU_DEP_2)
	v_add_f64 v[213:214], v[219:220], v[213:214]
	v_fma_f64 v[229:230], v[158:159], s[18:19], v[227:228]
	v_fma_f64 v[219:220], v[158:159], s[18:19], -v[227:228]
	s_delay_alu instid0(VALU_DEP_2) | instskip(SKIP_1) | instid1(VALU_DEP_3)
	v_add_f64 v[221:222], v[229:230], v[221:222]
	v_mul_f64 v[229:230], v[205:206], s[26:27]
	v_add_f64 v[217:218], v[219:220], v[217:218]
	s_delay_alu instid0(VALU_DEP_2) | instskip(SKIP_1) | instid1(VALU_DEP_2)
	v_fma_f64 v[231:232], v[156:157], s[0:1], -v[229:230]
	v_fma_f64 v[219:220], v[156:157], s[0:1], v[229:230]
	v_add_f64 v[215:216], v[231:232], v[215:216]
	v_mul_f64 v[231:232], v[207:208], s[26:27]
	s_delay_alu instid0(VALU_DEP_3) | instskip(NEXT) | instid1(VALU_DEP_2)
	v_add_f64 v[213:214], v[219:220], v[213:214]
	v_fma_f64 v[233:234], v[166:167], s[0:1], v[231:232]
	v_fma_f64 v[219:220], v[166:167], s[0:1], -v[231:232]
	s_delay_alu instid0(VALU_DEP_2) | instskip(SKIP_1) | instid1(VALU_DEP_3)
	v_add_f64 v[221:222], v[233:234], v[221:222]
	v_mul_f64 v[233:234], v[209:210], s[22:23]
	v_add_f64 v[217:218], v[219:220], v[217:218]
	s_delay_alu instid0(VALU_DEP_2) | instskip(SKIP_1) | instid1(VALU_DEP_2)
	v_fma_f64 v[235:236], v[164:165], s[16:17], -v[233:234]
	v_fma_f64 v[219:220], v[164:165], s[16:17], v[233:234]
	v_add_f64 v[237:238], v[235:236], v[215:216]
	v_mul_f64 v[215:216], v[211:212], s[22:23]
	s_delay_alu instid0(VALU_DEP_3) | instskip(NEXT) | instid1(VALU_DEP_2)
	v_add_f64 v[213:214], v[219:220], v[213:214]
	v_fma_f64 v[235:236], v[170:171], s[16:17], v[215:216]
	v_fma_f64 v[215:216], v[170:171], s[16:17], -v[215:216]
	s_delay_alu instid0(VALU_DEP_2) | instskip(NEXT) | instid1(VALU_DEP_2)
	v_add_f64 v[239:240], v[235:236], v[221:222]
	v_add_f64 v[215:216], v[215:216], v[217:218]
	v_mul_f64 v[217:218], v[194:195], s[36:37]
	v_mul_f64 v[194:195], v[194:195], s[28:29]
	s_clause 0x1
	scratch_store_b128 off, v[237:240], off offset:52
	scratch_store_b128 off, v[213:216], off offset:36
	v_mul_f64 v[213:214], v[192:193], s[22:23]
	v_fma_f64 v[219:220], v[138:139], s[14:15], -v[217:218]
	v_fma_f64 v[217:218], v[138:139], s[14:15], v[217:218]
	v_mul_f64 v[192:193], v[192:193], s[24:25]
	s_delay_alu instid0(VALU_DEP_4) | instskip(SKIP_1) | instid1(VALU_DEP_2)
	v_fma_f64 v[215:216], v[136:137], s[16:17], -v[213:214]
	v_fma_f64 v[213:214], v[136:137], s[16:17], v[213:214]
	v_add_f64 v[215:216], v[0:1], v[215:216]
	s_delay_alu instid0(VALU_DEP_2) | instskip(NEXT) | instid1(VALU_DEP_2)
	v_add_f64 v[213:214], v[0:1], v[213:214]
	v_add_f64 v[215:216], v[219:220], v[215:216]
	v_mul_f64 v[219:220], v[196:197], s[22:23]
	s_delay_alu instid0(VALU_DEP_3) | instskip(SKIP_1) | instid1(VALU_DEP_3)
	v_add_f64 v[213:214], v[217:218], v[213:214]
	v_mul_f64 v[196:197], v[196:197], s[24:25]
	v_fma_f64 v[221:222], v[150:151], s[16:17], v[219:220]
	v_fma_f64 v[217:218], v[150:151], s[16:17], -v[219:220]
	v_fma_f64 v[219:220], v[148:149], s[14:15], -v[223:224]
	s_delay_alu instid0(VALU_DEP_3) | instskip(NEXT) | instid1(VALU_DEP_3)
	v_add_f64 v[221:222], v[2:3], v[221:222]
	v_add_f64 v[217:218], v[2:3], v[217:218]
	s_delay_alu instid0(VALU_DEP_2) | instskip(SKIP_1) | instid1(VALU_DEP_3)
	v_add_f64 v[221:222], v[225:226], v[221:222]
	v_mul_f64 v[225:226], v[201:202], s[26:27]
	v_add_f64 v[217:218], v[219:220], v[217:218]
	v_mul_f64 v[201:202], v[201:202], s[22:23]
	s_delay_alu instid0(VALU_DEP_3) | instskip(SKIP_1) | instid1(VALU_DEP_2)
	v_fma_f64 v[227:228], v[146:147], s[0:1], -v[225:226]
	v_fma_f64 v[219:220], v[146:147], s[0:1], v[225:226]
	v_add_f64 v[215:216], v[227:228], v[215:216]
	v_mul_f64 v[227:228], v[203:204], s[26:27]
	s_delay_alu instid0(VALU_DEP_3) | instskip(SKIP_1) | instid1(VALU_DEP_3)
	v_add_f64 v[213:214], v[219:220], v[213:214]
	v_mul_f64 v[203:204], v[203:204], s[22:23]
	v_fma_f64 v[229:230], v[158:159], s[0:1], v[227:228]
	v_fma_f64 v[219:220], v[158:159], s[0:1], -v[227:228]
	s_delay_alu instid0(VALU_DEP_2) | instskip(SKIP_1) | instid1(VALU_DEP_3)
	v_add_f64 v[221:222], v[229:230], v[221:222]
	v_mul_f64 v[229:230], v[205:206], s[24:25]
	v_add_f64 v[217:218], v[219:220], v[217:218]
	v_mul_f64 v[205:206], v[205:206], s[30:31]
	s_delay_alu instid0(VALU_DEP_3) | instskip(SKIP_1) | instid1(VALU_DEP_2)
	v_fma_f64 v[231:232], v[156:157], s[8:9], -v[229:230]
	v_fma_f64 v[219:220], v[156:157], s[8:9], v[229:230]
	v_add_f64 v[215:216], v[231:232], v[215:216]
	v_mul_f64 v[231:232], v[207:208], s[24:25]
	s_delay_alu instid0(VALU_DEP_3) | instskip(SKIP_1) | instid1(VALU_DEP_3)
	v_add_f64 v[213:214], v[219:220], v[213:214]
	v_mul_f64 v[207:208], v[207:208], s[30:31]
	v_fma_f64 v[233:234], v[166:167], s[8:9], v[231:232]
	v_fma_f64 v[219:220], v[166:167], s[8:9], -v[231:232]
	;; [unrolled: 15-line block ×3, first 2 shown]
	s_delay_alu instid0(VALU_DEP_2) | instskip(NEXT) | instid1(VALU_DEP_2)
	v_add_f64 v[239:240], v[235:236], v[221:222]
	v_add_f64 v[215:216], v[215:216], v[217:218]
	v_fma_f64 v[217:218], v[148:149], s[0:1], v[198:199]
	s_clause 0x1
	scratch_store_b128 off, v[237:240], off offset:68
	scratch_store_b128 off, v[213:216], off offset:84
	v_fma_f64 v[213:214], v[136:137], s[8:9], -v[192:193]
	v_fma_f64 v[215:216], v[138:139], s[0:1], -v[194:195]
	v_fma_f64 v[192:193], v[136:137], s[8:9], v[192:193]
	v_fma_f64 v[194:195], v[138:139], s[0:1], v[194:195]
	s_delay_alu instid0(VALU_DEP_4) | instskip(NEXT) | instid1(VALU_DEP_3)
	v_add_f64 v[213:214], v[0:1], v[213:214]
	v_add_f64 v[192:193], v[0:1], v[192:193]
	s_delay_alu instid0(VALU_DEP_2) | instskip(SKIP_1) | instid1(VALU_DEP_3)
	v_add_f64 v[213:214], v[215:216], v[213:214]
	v_fma_f64 v[215:216], v[150:151], s[8:9], v[196:197]
	v_add_f64 v[192:193], v[194:195], v[192:193]
	v_fma_f64 v[194:195], v[150:151], s[8:9], -v[196:197]
	v_fma_f64 v[196:197], v[148:149], s[0:1], -v[198:199]
	;; [unrolled: 1-line block ×3, first 2 shown]
	v_add_f64 v[215:216], v[2:3], v[215:216]
	s_delay_alu instid0(VALU_DEP_4) | instskip(NEXT) | instid1(VALU_DEP_2)
	v_add_f64 v[194:195], v[2:3], v[194:195]
	v_add_f64 v[215:216], v[217:218], v[215:216]
	v_fma_f64 v[217:218], v[146:147], s[16:17], -v[201:202]
	s_delay_alu instid0(VALU_DEP_3) | instskip(SKIP_1) | instid1(VALU_DEP_3)
	v_add_f64 v[194:195], v[196:197], v[194:195]
	v_fma_f64 v[196:197], v[146:147], s[16:17], v[201:202]
	v_add_f64 v[213:214], v[217:218], v[213:214]
	v_fma_f64 v[217:218], v[158:159], s[16:17], v[203:204]
	s_delay_alu instid0(VALU_DEP_3) | instskip(SKIP_1) | instid1(VALU_DEP_3)
	v_add_f64 v[192:193], v[196:197], v[192:193]
	v_fma_f64 v[196:197], v[158:159], s[16:17], -v[203:204]
	v_add_f64 v[215:216], v[217:218], v[215:216]
	v_fma_f64 v[217:218], v[156:157], s[18:19], -v[205:206]
	s_delay_alu instid0(VALU_DEP_3) | instskip(SKIP_1) | instid1(VALU_DEP_3)
	v_add_f64 v[194:195], v[196:197], v[194:195]
	v_fma_f64 v[196:197], v[156:157], s[18:19], v[205:206]
	v_add_f64 v[213:214], v[217:218], v[213:214]
	v_fma_f64 v[217:218], v[166:167], s[18:19], v[207:208]
	s_delay_alu instid0(VALU_DEP_3) | instskip(SKIP_1) | instid1(VALU_DEP_3)
	v_add_f64 v[192:193], v[196:197], v[192:193]
	v_fma_f64 v[196:197], v[166:167], s[18:19], -v[207:208]
	v_add_f64 v[215:216], v[217:218], v[215:216]
	v_fma_f64 v[217:218], v[164:165], s[14:15], -v[209:210]
	s_delay_alu instid0(VALU_DEP_3) | instskip(SKIP_1) | instid1(VALU_DEP_3)
	v_add_f64 v[194:195], v[196:197], v[194:195]
	v_fma_f64 v[196:197], v[164:165], s[14:15], v[209:210]
	v_add_f64 v[217:218], v[217:218], v[213:214]
	v_fma_f64 v[213:214], v[170:171], s[14:15], v[211:212]
	s_delay_alu instid0(VALU_DEP_3) | instskip(SKIP_1) | instid1(VALU_DEP_3)
	v_add_f64 v[192:193], v[196:197], v[192:193]
	v_add_f64 v[194:195], v[198:199], v[194:195]
	;; [unrolled: 1-line block ×3, first 2 shown]
	scratch_store_b128 off, v[192:195], off offset:116 ; 16-byte Folded Spill
	scratch_load_b32 v193, off, off         ; 4-byte Folded Reload
	scratch_store_b128 off, v[217:220], off offset:100 ; 16-byte Folded Spill
	s_waitcnt vmcnt(0)
	s_waitcnt_vscnt null, 0x0
	s_barrier
	buffer_gl0_inv
	v_mul_lo_u16 v192, v193, 11
	s_delay_alu instid0(VALU_DEP_1) | instskip(NEXT) | instid1(VALU_DEP_1)
	v_and_b32_e32 v192, 0xffff, v192
	v_lshlrev_b32_e32 v203, 4, v192
	ds_store_b128 v203, v[48:51]
	ds_store_b128 v203, v[64:67] offset:16
	ds_store_b128 v203, v[60:63] offset:32
	;; [unrolled: 1-line block ×10, first 2 shown]
	v_add_co_u32 v60, s20, v193, 55
	s_delay_alu instid0(VALU_DEP_1) | instskip(NEXT) | instid1(VALU_DEP_2)
	v_add_co_ci_u32_e64 v48, null, 0, 0, s20
	v_mul_u32_u24_e32 v48, 11, v60
	s_delay_alu instid0(VALU_DEP_1)
	v_lshlrev_b32_e32 v202, 4, v48
	ds_store_b128 v202, v[56:59]
	ds_store_b128 v202, v[44:47] offset:16
	ds_store_b128 v202, v[100:103] offset:32
	;; [unrolled: 1-line block ×10, first 2 shown]
	v_add_co_u32 v56, null, 0x6e, v193
	s_delay_alu instid0(VALU_DEP_1)
	v_mul_u32_u24_e32 v44, 11, v56
	scratch_store_b32 off, v44, off offset:1252 ; 4-byte Folded Spill
	s_and_saveexec_b32 s20, vcc_lo
	s_cbranch_execz .LBB0_7
; %bb.6:
	v_add_f64 v[4:5], v[0:1], v[4:5]
	v_add_f64 v[6:7], v[2:3], v[6:7]
	v_mul_f64 v[44:45], v[148:149], s[18:19]
	v_mul_f64 v[46:47], v[138:139], s[18:19]
	;; [unrolled: 1-line block ×4, first 2 shown]
	v_add_f64 v[4:5], v[4:5], v[8:9]
	v_add_f64 v[6:7], v[6:7], v[10:11]
	v_mul_f64 v[8:9], v[150:151], s[18:19]
	v_mul_f64 v[10:11], v[136:137], s[18:19]
	v_add_f64 v[44:45], v[142:143], v[44:45]
	v_add_f64 v[46:47], v[46:47], -v[132:133]
	v_add_f64 v[50:51], v[182:183], v[50:51]
	v_add_f64 v[48:49], v[48:49], -v[180:181]
	v_add_f64 v[4:5], v[4:5], v[12:13]
	v_add_f64 v[6:7], v[6:7], v[14:15]
	v_mul_f64 v[12:13], v[150:151], s[0:1]
	v_mul_f64 v[14:15], v[136:137], s[0:1]
	v_add_f64 v[8:9], v[190:191], v[8:9]
	v_add_f64 v[10:11], v[10:11], -v[186:187]
	v_add_f64 v[4:5], v[4:5], v[16:17]
	v_add_f64 v[6:7], v[6:7], v[18:19]
	v_mul_f64 v[16:17], v[148:149], s[16:17]
	v_add_f64 v[12:13], v[144:145], v[12:13]
	v_add_f64 v[14:15], v[14:15], -v[134:135]
	v_mul_f64 v[18:19], v[138:139], s[16:17]
	v_add_f64 v[8:9], v[2:3], v[8:9]
	v_add_f64 v[10:11], v[0:1], v[10:11]
	;; [unrolled: 1-line block ×4, first 2 shown]
	v_mul_f64 v[32:33], v[146:147], s[14:15]
	v_mul_f64 v[34:35], v[158:159], s[14:15]
	v_add_f64 v[16:17], v[188:189], v[16:17]
	v_add_f64 v[2:3], v[2:3], v[12:13]
	;; [unrolled: 1-line block ×3, first 2 shown]
	v_add_f64 v[18:19], v[18:19], -v[184:185]
	v_mul_f64 v[12:13], v[156:157], s[16:17]
	v_mul_f64 v[14:15], v[166:167], s[16:17]
	v_add_f64 v[4:5], v[4:5], v[28:29]
	v_add_f64 v[6:7], v[6:7], v[30:31]
	v_mul_f64 v[30:31], v[166:167], s[14:15]
	v_add_f64 v[34:35], v[154:155], v[34:35]
	v_add_f64 v[32:33], v[32:33], -v[140:141]
	v_add_f64 v[8:9], v[16:17], v[8:9]
	v_add_f64 v[2:3], v[44:45], v[2:3]
	;; [unrolled: 1-line block ×4, first 2 shown]
	v_mul_f64 v[16:17], v[164:165], s[8:9]
	v_mul_f64 v[18:19], v[170:171], s[8:9]
	v_add_f64 v[14:15], v[160:161], v[14:15]
	v_add_f64 v[12:13], v[12:13], -v[152:153]
	v_mul_f64 v[28:29], v[156:157], s[14:15]
	v_add_f64 v[4:5], v[4:5], v[24:25]
	v_add_f64 v[6:7], v[6:7], v[26:27]
	v_mul_f64 v[26:27], v[170:171], s[0:1]
	v_add_f64 v[30:31], v[178:179], v[30:31]
	v_mul_f64 v[24:25], v[164:165], s[0:1]
	v_add_f64 v[8:9], v[50:51], v[8:9]
	v_add_f64 v[2:3], v[34:35], v[2:3]
	;; [unrolled: 1-line block ×4, first 2 shown]
	v_add_f64 v[16:17], v[16:17], -v[162:163]
	v_add_f64 v[18:19], v[168:169], v[18:19]
	v_add_f64 v[28:29], v[28:29], -v[174:175]
	v_add_f64 v[4:5], v[4:5], v[20:21]
	v_add_f64 v[6:7], v[6:7], v[22:23]
	v_add_f64 v[20:21], v[176:177], v[26:27]
	v_add_f64 v[22:23], v[24:25], -v[172:173]
	v_add_f64 v[8:9], v[30:31], v[8:9]
	v_add_f64 v[14:15], v[14:15], v[2:3]
	v_add_f64 v[12:13], v[12:13], v[0:1]
	v_add_f64 v[10:11], v[28:29], v[10:11]
	v_add_f64 v[4:5], v[4:5], v[36:37]
	v_add_f64 v[24:25], v[6:7], v[38:39]
	v_add_f64 v[2:3], v[20:21], v[8:9]
	v_add_f64 v[6:7], v[18:19], v[14:15]
	v_add_f64 v[0:1], v[22:23], v[10:11]
	v_add_f64 v[8:9], v[4:5], v[40:41]
	v_add_f64 v[4:5], v[16:17], v[12:13]
	scratch_load_b128 v[13:16], off, off offset:68 ; 16-byte Folded Reload
	v_mul_u32_u24_e32 v12, 11, v56
	v_add_f64 v[10:11], v[24:25], v[42:43]
	s_delay_alu instid0(VALU_DEP_2)
	v_lshlrev_b32_e32 v12, 4, v12
	s_waitcnt vmcnt(0)
	ds_store_b128 v12, v[13:16] offset:64
	scratch_load_b128 v[13:16], off, off offset:100 ; 16-byte Folded Reload
	s_waitcnt vmcnt(0)
	ds_store_b128 v12, v[13:16] offset:80
	scratch_load_b128 v[13:16], off, off offset:116 ; 16-byte Folded Reload
	;; [unrolled: 3-line block ×5, first 2 shown]
	s_waitcnt vmcnt(0)
	ds_store_b128 v12, v[13:16] offset:144
	ds_store_b128 v12, v[0:3] offset:32
	scratch_load_b128 v[0:3], off, off offset:52 ; 16-byte Folded Reload
	s_waitcnt vmcnt(0)
	ds_store_b128 v12, v[0:3] offset:48
	ds_store_b128 v12, v[8:11]
	ds_store_b128 v12, v[4:7] offset:16
	scratch_load_b128 v[0:3], off, off offset:4 ; 16-byte Folded Reload
	s_waitcnt vmcnt(0)
	ds_store_b128 v12, v[0:3] offset:160
.LBB0_7:
	s_or_b32 exec_lo, exec_lo, s20
	scratch_load_b32 v139, off, off         ; 4-byte Folded Reload
	s_waitcnt vmcnt(0) lgkmcnt(0)
	s_waitcnt_vscnt null, 0x0
	s_barrier
	buffer_gl0_inv
	s_mov_b32 s16, 0x134454ff
	s_mov_b32 s17, 0x3fee6f0e
	;; [unrolled: 1-line block ×10, first 2 shown]
	v_add_co_u32 v61, null, 0xdc, v139
	v_and_b32_e32 v1, 0xff, v139
	s_delay_alu instid0(VALU_DEP_2) | instskip(NEXT) | instid1(VALU_DEP_1)
	v_and_b32_e32 v57, 0xffff, v61
	v_mul_u32_u24_e32 v0, 0xba2f, v57
	s_delay_alu instid0(VALU_DEP_1) | instskip(NEXT) | instid1(VALU_DEP_1)
	v_lshrrev_b32_e32 v58, 19, v0
	v_mul_lo_u16 v0, v58, 11
	s_delay_alu instid0(VALU_DEP_1) | instskip(SKIP_1) | instid1(VALU_DEP_2)
	v_sub_nc_u16 v59, v61, v0
	v_mul_lo_u16 v0, 0x75, v1
	v_lshlrev_b16 v1, 2, v59
	s_delay_alu instid0(VALU_DEP_2) | instskip(NEXT) | instid1(VALU_DEP_2)
	v_lshrrev_b16 v0, 8, v0
	v_and_b32_e32 v1, 0xffff, v1
	s_delay_alu instid0(VALU_DEP_2) | instskip(NEXT) | instid1(VALU_DEP_2)
	v_sub_nc_u16 v2, v139, v0
	v_lshlrev_b32_e32 v1, 4, v1
	s_delay_alu instid0(VALU_DEP_2)
	v_lshrrev_b16 v2, 1, v2
	s_clause 0x1
	global_load_b128 v[75:78], v1, s[2:3]
	global_load_b128 v[79:82], v1, s[2:3] offset:16
	v_and_b32_e32 v2, 0x7f, v2
	s_clause 0x1
	global_load_b128 v[83:86], v1, s[2:3] offset:32
	global_load_b128 v[87:90], v1, s[2:3] offset:48
	v_and_b32_e32 v1, 0xff, v60
	v_add_nc_u16 v0, v2, v0
	s_delay_alu instid0(VALU_DEP_2) | instskip(NEXT) | instid1(VALU_DEP_2)
	v_mul_lo_u16 v1, 0x75, v1
	v_lshrrev_b16 v62, 3, v0
	s_delay_alu instid0(VALU_DEP_2) | instskip(NEXT) | instid1(VALU_DEP_2)
	v_lshrrev_b16 v1, 8, v1
	v_mul_lo_u16 v0, v62, 11
	s_delay_alu instid0(VALU_DEP_2) | instskip(NEXT) | instid1(VALU_DEP_2)
	v_sub_nc_u16 v2, v60, v1
	v_sub_nc_u16 v0, v139, v0
	s_delay_alu instid0(VALU_DEP_1) | instskip(NEXT) | instid1(VALU_DEP_1)
	v_and_b32_e32 v63, 0xff, v0
	v_lshlrev_b32_e32 v0, 6, v63
	s_clause 0x3
	global_load_b128 v[91:94], v0, s[2:3]
	global_load_b128 v[95:98], v0, s[2:3] offset:16
	global_load_b128 v[99:102], v0, s[2:3] offset:32
	;; [unrolled: 1-line block ×3, first 2 shown]
	v_lshrrev_b16 v0, 1, v2
	s_delay_alu instid0(VALU_DEP_1) | instskip(NEXT) | instid1(VALU_DEP_1)
	v_and_b32_e32 v0, 0x7f, v0
	v_add_nc_u16 v0, v0, v1
	s_delay_alu instid0(VALU_DEP_1) | instskip(NEXT) | instid1(VALU_DEP_1)
	v_lshrrev_b16 v64, 3, v0
	v_mul_lo_u16 v0, v64, 11
	s_delay_alu instid0(VALU_DEP_1) | instskip(NEXT) | instid1(VALU_DEP_1)
	v_sub_nc_u16 v0, v60, v0
	v_and_b32_e32 v65, 0xff, v0
	s_delay_alu instid0(VALU_DEP_1)
	v_lshlrev_b32_e32 v66, 6, v65
	s_clause 0x1
	global_load_b128 v[107:110], v66, s[2:3]
	global_load_b128 v[111:114], v66, s[2:3] offset:16
	ds_load_b128 v[16:19], v200 offset:7920
	ds_load_b128 v[12:15], v200 offset:12320
	;; [unrolled: 1-line block ×11, first 2 shown]
	s_waitcnt vmcnt(9) lgkmcnt(10)
	v_mul_f64 v[40:41], v[18:19], v[77:78]
	v_mul_f64 v[42:43], v[16:17], v[77:78]
	s_waitcnt vmcnt(8) lgkmcnt(9)
	v_mul_f64 v[44:45], v[14:15], v[81:82]
	s_waitcnt vmcnt(7) lgkmcnt(8)
	v_mul_f64 v[52:53], v[10:11], v[85:86]
	v_mul_f64 v[54:55], v[8:9], v[85:86]
	;; [unrolled: 1-line block ×3, first 2 shown]
	s_waitcnt vmcnt(6) lgkmcnt(6)
	v_mul_f64 v[48:49], v[30:31], v[89:90]
	v_mul_f64 v[50:51], v[28:29], v[89:90]
	s_clause 0x3
	scratch_store_b128 off, v[75:78], off offset:584
	scratch_store_b128 off, v[79:82], off offset:568
	;; [unrolled: 1-line block ×4, first 2 shown]
	s_waitcnt vmcnt(5) lgkmcnt(4)
	v_mul_f64 v[67:68], v[34:35], v[93:94]
	scratch_store_b128 off, v[91:94], off offset:616 ; 16-byte Folded Spill
	s_waitcnt vmcnt(4)
	scratch_store_b128 off, v[95:98], off offset:600 ; 16-byte Folded Spill
	v_fma_f64 v[73:74], v[16:17], v[75:76], -v[40:41]
	v_fma_f64 v[75:76], v[18:19], v[75:76], v[42:43]
	v_mul_f64 v[16:17], v[32:33], v[93:94]
	s_waitcnt lgkmcnt(2)
	v_mul_f64 v[18:19], v[38:39], v[97:98]
	v_fma_f64 v[81:82], v[8:9], v[83:84], -v[52:53]
	v_fma_f64 v[83:84], v[10:11], v[83:84], v[54:55]
	ds_load_b128 v[8:11], v200 offset:17600
	v_fma_f64 v[77:78], v[12:13], v[79:80], -v[44:45]
	v_fma_f64 v[79:80], v[14:15], v[79:80], v[46:47]
	ds_load_b128 v[12:15], v200 offset:18480
	s_waitcnt vmcnt(3)
	v_mul_f64 v[42:43], v[22:23], v[101:102]
	v_fma_f64 v[85:86], v[28:29], v[87:88], -v[48:49]
	v_fma_f64 v[87:88], v[30:31], v[87:88], v[50:51]
	v_mul_f64 v[40:41], v[36:37], v[97:98]
	v_mul_f64 v[28:29], v[20:21], v[101:102]
	scratch_store_b128 off, v[99:102], off offset:632 ; 16-byte Folded Spill
	s_waitcnt vmcnt(2)
	scratch_store_b128 off, v[103:106], off offset:648 ; 16-byte Folded Spill
	v_and_b32_e32 v53, 0xff, v56
	v_add_co_u32 v52, null, 0xa5, v139
	s_delay_alu instid0(VALU_DEP_1)
	v_and_b32_e32 v54, 0xff, v52
	s_waitcnt lgkmcnt(1)
	v_mul_f64 v[30:31], v[10:11], v[105:106]
	v_fma_f64 v[89:90], v[32:33], v[91:92], -v[67:68]
	v_mul_f64 v[32:33], v[8:9], v[105:106]
	s_waitcnt vmcnt(1)
	scratch_store_b128 off, v[107:110], off offset:664 ; 16-byte Folded Spill
	s_waitcnt vmcnt(0)
	scratch_store_b128 off, v[111:114], off offset:680 ; 16-byte Folded Spill
	v_fma_f64 v[91:92], v[34:35], v[91:92], v[16:17]
	v_fma_f64 v[93:94], v[36:37], v[95:96], -v[18:19]
	ds_load_b128 v[16:19], v200 offset:5280
	v_fma_f64 v[97:98], v[20:21], v[99:100], -v[42:43]
	v_fma_f64 v[95:96], v[38:39], v[95:96], v[40:41]
	v_fma_f64 v[99:100], v[22:23], v[99:100], v[28:29]
	v_fma_f64 v[101:102], v[8:9], v[103:104], -v[30:31]
	v_fma_f64 v[103:104], v[10:11], v[103:104], v[32:33]
	ds_load_b128 v[8:11], v200 offset:6160
	s_waitcnt lgkmcnt(1)
	v_mul_f64 v[20:21], v[18:19], v[109:110]
	v_add_f64 v[127:128], v[93:94], -v[97:98]
	v_add_f64 v[125:126], v[89:90], -v[101:102]
	s_delay_alu instid0(VALU_DEP_3) | instskip(SKIP_1) | instid1(VALU_DEP_1)
	v_fma_f64 v[105:106], v[16:17], v[107:108], -v[20:21]
	v_mul_f64 v[16:17], v[16:17], v[109:110]
	v_fma_f64 v[107:108], v[18:19], v[107:108], v[16:17]
	v_mul_f64 v[16:17], v[26:27], v[113:114]
	s_delay_alu instid0(VALU_DEP_1) | instskip(SKIP_1) | instid1(VALU_DEP_1)
	v_fma_f64 v[109:110], v[24:25], v[111:112], -v[16:17]
	v_mul_f64 v[16:17], v[24:25], v[113:114]
	v_fma_f64 v[111:112], v[26:27], v[111:112], v[16:17]
	s_clause 0x1
	global_load_b128 v[30:33], v66, s[2:3] offset:32
	global_load_b128 v[26:29], v66, s[2:3] offset:48
	ds_load_b128 v[16:19], v200 offset:14080
	ds_load_b128 v[20:23], v200 offset:14960
	s_waitcnt vmcnt(1) lgkmcnt(1)
	v_mul_f64 v[24:25], v[18:19], v[32:33]
	scratch_store_b128 off, v[30:33], off offset:752 ; 16-byte Folded Spill
	s_waitcnt vmcnt(0)
	scratch_store_b128 off, v[26:29], off offset:720 ; 16-byte Folded Spill
	v_fma_f64 v[113:114], v[16:17], v[30:31], -v[24:25]
	v_mul_f64 v[16:17], v[16:17], v[32:33]
	s_delay_alu instid0(VALU_DEP_1) | instskip(SKIP_1) | instid1(VALU_DEP_1)
	v_fma_f64 v[115:116], v[18:19], v[30:31], v[16:17]
	v_mul_f64 v[16:17], v[14:15], v[28:29]
	v_fma_f64 v[117:118], v[12:13], v[26:27], -v[16:17]
	v_mul_f64 v[12:13], v[12:13], v[28:29]
	s_delay_alu instid0(VALU_DEP_1) | instskip(SKIP_1) | instid1(VALU_DEP_1)
	v_fma_f64 v[119:120], v[14:15], v[26:27], v[12:13]
	v_mul_lo_u16 v12, 0x75, v53
	v_lshrrev_b16 v12, 8, v12
	s_delay_alu instid0(VALU_DEP_1) | instskip(NEXT) | instid1(VALU_DEP_1)
	v_sub_nc_u16 v13, v56, v12
	v_lshrrev_b16 v13, 1, v13
	s_delay_alu instid0(VALU_DEP_1) | instskip(NEXT) | instid1(VALU_DEP_1)
	v_and_b32_e32 v13, 0x7f, v13
	v_add_nc_u16 v12, v13, v12
	s_delay_alu instid0(VALU_DEP_1) | instskip(NEXT) | instid1(VALU_DEP_1)
	v_lshrrev_b16 v55, 3, v12
	v_mul_lo_u16 v12, v55, 11
	s_delay_alu instid0(VALU_DEP_1) | instskip(NEXT) | instid1(VALU_DEP_1)
	v_sub_nc_u16 v12, v56, v12
	v_and_b32_e32 v66, 0xff, v12
	s_delay_alu instid0(VALU_DEP_1)
	v_lshlrev_b32_e32 v18, 6, v66
	s_clause 0x1
	global_load_b128 v[14:17], v18, s[2:3]
	global_load_b128 v[24:27], v18, s[2:3] offset:16
	s_waitcnt vmcnt(1)
	v_mul_f64 v[12:13], v[10:11], v[16:17]
	scratch_store_b128 off, v[14:17], off offset:800 ; 16-byte Folded Spill
	v_fma_f64 v[38:39], v[8:9], v[14:15], -v[12:13]
	v_mul_f64 v[8:9], v[8:9], v[16:17]
	s_delay_alu instid0(VALU_DEP_1)
	v_fma_f64 v[36:37], v[10:11], v[14:15], v[8:9]
	ds_load_b128 v[8:11], v200 offset:10560
	ds_load_b128 v[12:15], v200 offset:11440
	s_waitcnt vmcnt(0)
	scratch_store_b128 off, v[24:27], off offset:768 ; 16-byte Folded Spill
	s_waitcnt lgkmcnt(1)
	v_mul_f64 v[16:17], v[10:11], v[26:27]
	s_delay_alu instid0(VALU_DEP_1) | instskip(SKIP_1) | instid1(VALU_DEP_2)
	v_fma_f64 v[40:41], v[8:9], v[24:25], -v[16:17]
	v_mul_f64 v[8:9], v[8:9], v[26:27]
	v_add_f64 v[137:138], v[40:41], -v[38:39]
	s_delay_alu instid0(VALU_DEP_2)
	v_fma_f64 v[42:43], v[10:11], v[24:25], v[8:9]
	s_clause 0x1
	global_load_b128 v[28:31], v18, s[2:3] offset:32
	global_load_b128 v[24:27], v18, s[2:3] offset:48
	s_waitcnt vmcnt(1)
	v_mul_f64 v[8:9], v[22:23], v[30:31]
	scratch_store_b128 off, v[28:31], off offset:816 ; 16-byte Folded Spill
	v_fma_f64 v[46:47], v[20:21], v[28:29], -v[8:9]
	v_mul_f64 v[8:9], v[20:21], v[30:31]
	s_delay_alu instid0(VALU_DEP_2) | instskip(NEXT) | instid1(VALU_DEP_2)
	v_add_f64 v[135:136], v[40:41], -v[46:47]
	v_fma_f64 v[44:45], v[22:23], v[28:29], v[8:9]
	ds_load_b128 v[8:11], v200 offset:19360
	ds_load_b128 v[16:19], v200 offset:20240
	s_waitcnt vmcnt(0)
	scratch_store_b128 off, v[24:27], off offset:784 ; 16-byte Folded Spill
	s_waitcnt lgkmcnt(1)
	v_mul_f64 v[20:21], v[10:11], v[26:27]
	v_add_f64 v[131:132], v[42:43], -v[44:45]
	s_delay_alu instid0(VALU_DEP_2) | instskip(SKIP_1) | instid1(VALU_DEP_2)
	v_fma_f64 v[48:49], v[8:9], v[24:25], -v[20:21]
	v_mul_f64 v[8:9], v[8:9], v[26:27]
	v_add_f64 v[133:134], v[38:39], -v[48:49]
	s_delay_alu instid0(VALU_DEP_2) | instskip(SKIP_1) | instid1(VALU_DEP_1)
	v_fma_f64 v[50:51], v[10:11], v[24:25], v[8:9]
	v_mul_lo_u16 v8, 0x75, v54
	v_lshrrev_b16 v8, 8, v8
	s_delay_alu instid0(VALU_DEP_1) | instskip(NEXT) | instid1(VALU_DEP_1)
	v_sub_nc_u16 v9, v52, v8
	v_lshrrev_b16 v9, 1, v9
	s_delay_alu instid0(VALU_DEP_1) | instskip(NEXT) | instid1(VALU_DEP_1)
	v_and_b32_e32 v9, 0x7f, v9
	v_add_nc_u16 v8, v9, v8
	s_delay_alu instid0(VALU_DEP_1) | instskip(NEXT) | instid1(VALU_DEP_1)
	v_lshrrev_b16 v67, 3, v8
	v_mul_lo_u16 v8, v67, 11
	v_add_f64 v[129:130], v[36:37], -v[50:51]
	s_delay_alu instid0(VALU_DEP_2) | instskip(NEXT) | instid1(VALU_DEP_1)
	v_sub_nc_u16 v8, v52, v8
	v_and_b32_e32 v68, 0xff, v8
	s_delay_alu instid0(VALU_DEP_1)
	v_lshlrev_b32_e32 v10, 6, v68
	s_clause 0x1
	global_load_b128 v[30:33], v10, s[2:3]
	global_load_b128 v[26:29], v10, s[2:3] offset:16
	s_waitcnt vmcnt(1)
	v_mul_f64 v[8:9], v[2:3], v[32:33]
	scratch_store_b128 off, v[30:33], off offset:880 ; 16-byte Folded Spill
	s_waitcnt vmcnt(0)
	scratch_store_b128 off, v[26:29], off offset:848 ; 16-byte Folded Spill
	v_fma_f64 v[22:23], v[0:1], v[30:31], -v[8:9]
	v_mul_f64 v[0:1], v[0:1], v[32:33]
	s_delay_alu instid0(VALU_DEP_1) | instskip(SKIP_2) | instid1(VALU_DEP_2)
	v_fma_f64 v[20:21], v[2:3], v[30:31], v[0:1]
	v_mul_f64 v[0:1], v[14:15], v[28:29]
	v_add_f64 v[2:3], v[85:86], -v[81:82]
	v_fma_f64 v[24:25], v[12:13], v[26:27], -v[0:1]
	v_mul_f64 v[0:1], v[12:13], v[28:29]
	s_delay_alu instid0(VALU_DEP_1)
	v_fma_f64 v[26:27], v[14:15], v[26:27], v[0:1]
	s_clause 0x1
	global_load_b128 v[12:15], v10, s[2:3] offset:32
	global_load_b128 v[8:11], v10, s[2:3] offset:48
	s_waitcnt vmcnt(1)
	v_mul_f64 v[0:1], v[6:7], v[14:15]
	scratch_store_b128 off, v[12:15], off offset:864 ; 16-byte Folded Spill
	s_waitcnt vmcnt(0)
	scratch_store_b128 off, v[8:11], off offset:832 ; 16-byte Folded Spill
	v_fma_f64 v[30:31], v[4:5], v[12:13], -v[0:1]
	v_mul_f64 v[0:1], v[4:5], v[14:15]
	v_add_f64 v[14:15], v[79:80], -v[83:84]
	s_delay_alu instid0(VALU_DEP_2) | instskip(SKIP_3) | instid1(VALU_DEP_2)
	v_fma_f64 v[28:29], v[6:7], v[12:13], v[0:1]
	s_waitcnt lgkmcnt(0)
	v_mul_f64 v[0:1], v[18:19], v[10:11]
	v_add_f64 v[12:13], v[75:76], -v[87:88]
	v_fma_f64 v[32:33], v[16:17], v[8:9], -v[0:1]
	v_mul_f64 v[0:1], v[16:17], v[10:11]
	v_add_f64 v[16:17], v[73:74], -v[85:86]
	s_delay_alu instid0(VALU_DEP_2) | instskip(SKIP_2) | instid1(VALU_DEP_2)
	v_fma_f64 v[34:35], v[18:19], v[8:9], v[0:1]
	v_add_f64 v[0:1], v[73:74], -v[77:78]
	v_add_f64 v[18:19], v[77:78], -v[81:82]
	v_add_f64 v[4:5], v[0:1], v[2:3]
	v_add_f64 v[0:1], v[75:76], -v[79:80]
	v_add_f64 v[2:3], v[87:88], -v[83:84]
	s_delay_alu instid0(VALU_DEP_1) | instskip(SKIP_1) | instid1(VALU_DEP_1)
	v_add_f64 v[6:7], v[0:1], v[2:3]
	v_add_f64 v[0:1], v[77:78], v[81:82]
	v_fma_f64 v[8:9], v[0:1], -0.5, v[69:70]
	v_add_f64 v[0:1], v[79:80], v[83:84]
	s_delay_alu instid0(VALU_DEP_1) | instskip(NEXT) | instid1(VALU_DEP_3)
	v_fma_f64 v[10:11], v[0:1], -0.5, v[71:72]
	v_fma_f64 v[0:1], v[12:13], s[16:17], v[8:9]
	v_fma_f64 v[8:9], v[12:13], s[18:19], v[8:9]
	s_delay_alu instid0(VALU_DEP_3) | instskip(NEXT) | instid1(VALU_DEP_3)
	v_fma_f64 v[2:3], v[16:17], s[18:19], v[10:11]
	v_fma_f64 v[0:1], v[14:15], s[8:9], v[0:1]
	s_delay_alu instid0(VALU_DEP_3) | instskip(SKIP_1) | instid1(VALU_DEP_4)
	v_fma_f64 v[8:9], v[14:15], s[14:15], v[8:9]
	v_fma_f64 v[10:11], v[16:17], s[16:17], v[10:11]
	v_fma_f64 v[2:3], v[18:19], s[14:15], v[2:3]
	s_delay_alu instid0(VALU_DEP_4) | instskip(NEXT) | instid1(VALU_DEP_4)
	v_fma_f64 v[0:1], v[4:5], s[20:21], v[0:1]
	v_fma_f64 v[4:5], v[4:5], s[20:21], v[8:9]
	v_add_f64 v[8:9], v[73:74], v[85:86]
	v_fma_f64 v[10:11], v[18:19], s[8:9], v[10:11]
	v_fma_f64 v[2:3], v[6:7], s[20:21], v[2:3]
	s_delay_alu instid0(VALU_DEP_3) | instskip(SKIP_1) | instid1(VALU_DEP_4)
	v_fma_f64 v[121:122], v[8:9], -0.5, v[69:70]
	v_add_f64 v[8:9], v[75:76], v[87:88]
	v_fma_f64 v[6:7], v[6:7], s[20:21], v[10:11]
	v_add_f64 v[10:11], v[71:72], v[75:76]
	s_delay_alu instid0(VALU_DEP_3) | instskip(SKIP_2) | instid1(VALU_DEP_4)
	v_fma_f64 v[123:124], v[8:9], -0.5, v[71:72]
	v_add_f64 v[8:9], v[69:70], v[73:74]
	v_add_f64 v[69:70], v[77:78], -v[73:74]
	v_add_f64 v[10:11], v[10:11], v[79:80]
	v_add_f64 v[71:72], v[79:80], -v[75:76]
	v_add_f64 v[73:74], v[81:82], -v[85:86]
	;; [unrolled: 1-line block ×3, first 2 shown]
	v_fma_f64 v[79:80], v[18:19], s[16:17], v[123:124]
	v_add_f64 v[8:9], v[8:9], v[77:78]
	v_fma_f64 v[77:78], v[14:15], s[18:19], v[121:122]
	v_fma_f64 v[14:15], v[14:15], s[16:17], v[121:122]
	;; [unrolled: 1-line block ×3, first 2 shown]
	v_add_f64 v[69:70], v[69:70], v[73:74]
	v_add_f64 v[71:72], v[71:72], v[75:76]
	;; [unrolled: 1-line block ×3, first 2 shown]
	v_add_f64 v[121:122], v[91:92], -v[103:104]
	v_add_f64 v[123:124], v[95:96], -v[99:100]
	v_add_f64 v[8:9], v[8:9], v[81:82]
	v_fma_f64 v[73:74], v[12:13], s[8:9], v[77:78]
	v_fma_f64 v[75:76], v[12:13], s[14:15], v[14:15]
	;; [unrolled: 1-line block ×4, first 2 shown]
	v_add_f64 v[77:78], v[93:94], v[97:98]
	v_add_f64 v[10:11], v[10:11], v[87:88]
	v_add_f64 v[8:9], v[8:9], v[85:86]
	v_fma_f64 v[12:13], v[69:70], s[20:21], v[73:74]
	v_fma_f64 v[16:17], v[69:70], s[20:21], v[75:76]
	;; [unrolled: 1-line block ×4, first 2 shown]
	v_add_f64 v[69:70], v[89:90], -v[93:94]
	v_add_f64 v[71:72], v[101:102], -v[97:98]
	s_delay_alu instid0(VALU_DEP_1) | instskip(SKIP_2) | instid1(VALU_DEP_1)
	v_add_f64 v[81:82], v[69:70], v[71:72]
	v_add_f64 v[69:70], v[91:92], -v[95:96]
	v_add_f64 v[71:72], v[103:104], -v[99:100]
	v_add_f64 v[83:84], v[69:70], v[71:72]
	ds_load_b128 v[69:72], v200
	ds_load_b128 v[73:76], v200 offset:880
	s_waitcnt lgkmcnt(1)
	v_fma_f64 v[85:86], v[77:78], -0.5, v[69:70]
	v_add_f64 v[77:78], v[95:96], v[99:100]
	s_delay_alu instid0(VALU_DEP_1) | instskip(NEXT) | instid1(VALU_DEP_3)
	v_fma_f64 v[87:88], v[77:78], -0.5, v[71:72]
	v_fma_f64 v[77:78], v[121:122], s[16:17], v[85:86]
	v_fma_f64 v[85:86], v[121:122], s[18:19], v[85:86]
	s_delay_alu instid0(VALU_DEP_3) | instskip(NEXT) | instid1(VALU_DEP_3)
	v_fma_f64 v[79:80], v[125:126], s[18:19], v[87:88]
	v_fma_f64 v[77:78], v[123:124], s[8:9], v[77:78]
	;; [unrolled: 1-line block ×3, first 2 shown]
	s_delay_alu instid0(VALU_DEP_4) | instskip(NEXT) | instid1(VALU_DEP_4)
	v_fma_f64 v[85:86], v[123:124], s[14:15], v[85:86]
	v_fma_f64 v[79:80], v[127:128], s[14:15], v[79:80]
	s_delay_alu instid0(VALU_DEP_4) | instskip(NEXT) | instid1(VALU_DEP_4)
	v_fma_f64 v[77:78], v[81:82], s[20:21], v[77:78]
	v_fma_f64 v[87:88], v[127:128], s[8:9], v[87:88]
	s_delay_alu instid0(VALU_DEP_4) | instskip(SKIP_2) | instid1(VALU_DEP_4)
	v_fma_f64 v[81:82], v[81:82], s[20:21], v[85:86]
	v_add_f64 v[85:86], v[89:90], v[101:102]
	v_fma_f64 v[79:80], v[83:84], s[20:21], v[79:80]
	v_fma_f64 v[83:84], v[83:84], s[20:21], v[87:88]
	v_add_f64 v[87:88], v[91:92], v[103:104]
	s_delay_alu instid0(VALU_DEP_4) | instskip(SKIP_2) | instid1(VALU_DEP_4)
	v_fma_f64 v[85:86], v[85:86], -0.5, v[69:70]
	v_add_f64 v[69:70], v[69:70], v[89:90]
	v_add_f64 v[89:90], v[93:94], -v[89:90]
	v_fma_f64 v[87:88], v[87:88], -0.5, v[71:72]
	v_add_f64 v[71:72], v[71:72], v[91:92]
	s_delay_alu instid0(VALU_DEP_4) | instskip(SKIP_2) | instid1(VALU_DEP_4)
	v_add_f64 v[69:70], v[69:70], v[93:94]
	v_add_f64 v[91:92], v[95:96], -v[91:92]
	v_add_f64 v[93:94], v[97:98], -v[101:102]
	v_add_f64 v[71:72], v[71:72], v[95:96]
	s_delay_alu instid0(VALU_DEP_4)
	v_add_f64 v[69:70], v[69:70], v[97:98]
	v_add_f64 v[95:96], v[99:100], -v[103:104]
	v_fma_f64 v[97:98], v[123:124], s[18:19], v[85:86]
	v_fma_f64 v[85:86], v[123:124], s[16:17], v[85:86]
	v_add_f64 v[89:90], v[89:90], v[93:94]
	v_add_f64 v[123:124], v[111:112], -v[115:116]
	v_add_f64 v[71:72], v[71:72], v[99:100]
	v_fma_f64 v[99:100], v[127:128], s[16:17], v[87:88]
	v_add_f64 v[91:92], v[91:92], v[95:96]
	v_fma_f64 v[93:94], v[121:122], s[8:9], v[97:98]
	v_fma_f64 v[95:96], v[121:122], s[14:15], v[85:86]
	;; [unrolled: 1-line block ×3, first 2 shown]
	v_add_f64 v[69:70], v[69:70], v[101:102]
	v_add_f64 v[121:122], v[107:108], -v[119:120]
	v_add_f64 v[127:128], v[109:110], -v[113:114]
	v_add_f64 v[71:72], v[71:72], v[103:104]
	v_fma_f64 v[97:98], v[125:126], s[14:15], v[99:100]
	v_fma_f64 v[85:86], v[89:90], s[20:21], v[93:94]
	;; [unrolled: 1-line block ×3, first 2 shown]
	v_add_f64 v[93:94], v[105:106], -v[109:110]
	v_add_f64 v[95:96], v[117:118], -v[113:114]
	v_fma_f64 v[99:100], v[125:126], s[8:9], v[87:88]
	v_add_f64 v[125:126], v[105:106], -v[117:118]
	v_fma_f64 v[87:88], v[91:92], s[20:21], v[97:98]
	s_delay_alu instid0(VALU_DEP_4) | instskip(SKIP_3) | instid1(VALU_DEP_2)
	v_add_f64 v[97:98], v[93:94], v[95:96]
	v_add_f64 v[93:94], v[107:108], -v[111:112]
	v_add_f64 v[95:96], v[119:120], -v[115:116]
	v_fma_f64 v[91:92], v[91:92], s[20:21], v[99:100]
	v_add_f64 v[99:100], v[93:94], v[95:96]
	v_add_f64 v[93:94], v[109:110], v[113:114]
	s_waitcnt lgkmcnt(0)
	s_delay_alu instid0(VALU_DEP_1) | instskip(SKIP_1) | instid1(VALU_DEP_1)
	v_fma_f64 v[101:102], v[93:94], -0.5, v[73:74]
	v_add_f64 v[93:94], v[111:112], v[115:116]
	v_fma_f64 v[103:104], v[93:94], -0.5, v[75:76]
	s_delay_alu instid0(VALU_DEP_3) | instskip(SKIP_1) | instid1(VALU_DEP_3)
	v_fma_f64 v[93:94], v[121:122], s[16:17], v[101:102]
	v_fma_f64 v[101:102], v[121:122], s[18:19], v[101:102]
	;; [unrolled: 1-line block ×3, first 2 shown]
	s_delay_alu instid0(VALU_DEP_3) | instskip(SKIP_1) | instid1(VALU_DEP_4)
	v_fma_f64 v[93:94], v[123:124], s[8:9], v[93:94]
	v_fma_f64 v[103:104], v[125:126], s[16:17], v[103:104]
	;; [unrolled: 1-line block ×3, first 2 shown]
	s_delay_alu instid0(VALU_DEP_4) | instskip(NEXT) | instid1(VALU_DEP_4)
	v_fma_f64 v[95:96], v[127:128], s[14:15], v[95:96]
	v_fma_f64 v[93:94], v[97:98], s[20:21], v[93:94]
	s_delay_alu instid0(VALU_DEP_4) | instskip(NEXT) | instid1(VALU_DEP_4)
	v_fma_f64 v[103:104], v[127:128], s[8:9], v[103:104]
	v_fma_f64 v[97:98], v[97:98], s[20:21], v[101:102]
	v_add_f64 v[101:102], v[105:106], v[117:118]
	v_fma_f64 v[95:96], v[99:100], s[20:21], v[95:96]
	s_delay_alu instid0(VALU_DEP_4) | instskip(SKIP_1) | instid1(VALU_DEP_4)
	v_fma_f64 v[99:100], v[99:100], s[20:21], v[103:104]
	v_add_f64 v[103:104], v[107:108], v[119:120]
	v_fma_f64 v[101:102], v[101:102], -0.5, v[73:74]
	v_add_f64 v[73:74], v[73:74], v[105:106]
	v_add_f64 v[105:106], v[109:110], -v[105:106]
	s_delay_alu instid0(VALU_DEP_4) | instskip(SKIP_1) | instid1(VALU_DEP_4)
	v_fma_f64 v[103:104], v[103:104], -0.5, v[75:76]
	v_add_f64 v[75:76], v[75:76], v[107:108]
	v_add_f64 v[73:74], v[73:74], v[109:110]
	v_add_f64 v[107:108], v[111:112], -v[107:108]
	v_add_f64 v[109:110], v[113:114], -v[117:118]
	s_delay_alu instid0(VALU_DEP_4) | instskip(NEXT) | instid1(VALU_DEP_4)
	v_add_f64 v[75:76], v[75:76], v[111:112]
	v_add_f64 v[73:74], v[73:74], v[113:114]
	v_add_f64 v[111:112], v[115:116], -v[119:120]
	v_fma_f64 v[113:114], v[123:124], s[18:19], v[101:102]
	v_fma_f64 v[101:102], v[123:124], s[16:17], v[101:102]
	v_add_f64 v[105:106], v[105:106], v[109:110]
	v_add_f64 v[75:76], v[75:76], v[115:116]
	v_fma_f64 v[115:116], v[127:128], s[16:17], v[103:104]
	v_add_f64 v[107:108], v[107:108], v[111:112]
	v_fma_f64 v[109:110], v[121:122], s[8:9], v[113:114]
	v_fma_f64 v[111:112], v[121:122], s[14:15], v[101:102]
	;; [unrolled: 1-line block ×3, first 2 shown]
	v_add_f64 v[73:74], v[73:74], v[117:118]
	v_add_f64 v[117:118], v[40:41], v[46:47]
	;; [unrolled: 1-line block ×3, first 2 shown]
	v_fma_f64 v[113:114], v[125:126], s[14:15], v[115:116]
	v_fma_f64 v[101:102], v[105:106], s[20:21], v[109:110]
	;; [unrolled: 1-line block ×3, first 2 shown]
	v_add_f64 v[109:110], v[38:39], -v[40:41]
	v_add_f64 v[111:112], v[48:49], -v[46:47]
	v_fma_f64 v[115:116], v[125:126], s[8:9], v[103:104]
	v_fma_f64 v[103:104], v[107:108], s[20:21], v[113:114]
	s_delay_alu instid0(VALU_DEP_3) | instskip(SKIP_3) | instid1(VALU_DEP_2)
	v_add_f64 v[121:122], v[109:110], v[111:112]
	v_add_f64 v[109:110], v[36:37], -v[42:43]
	v_add_f64 v[111:112], v[50:51], -v[44:45]
	v_fma_f64 v[107:108], v[107:108], s[20:21], v[115:116]
	v_add_f64 v[123:124], v[109:110], v[111:112]
	ds_load_b128 v[109:112], v200 offset:1760
	ds_load_b128 v[113:116], v200 offset:2640
	s_waitcnt lgkmcnt(0)
	s_waitcnt_vscnt null, 0x0
	s_barrier
	buffer_gl0_inv
	v_fma_f64 v[125:126], v[117:118], -0.5, v[109:110]
	v_add_f64 v[117:118], v[42:43], v[44:45]
	s_delay_alu instid0(VALU_DEP_1) | instskip(NEXT) | instid1(VALU_DEP_3)
	v_fma_f64 v[127:128], v[117:118], -0.5, v[111:112]
	v_fma_f64 v[117:118], v[129:130], s[16:17], v[125:126]
	v_fma_f64 v[125:126], v[129:130], s[18:19], v[125:126]
	s_delay_alu instid0(VALU_DEP_3) | instskip(SKIP_1) | instid1(VALU_DEP_4)
	v_fma_f64 v[119:120], v[133:134], s[18:19], v[127:128]
	v_fma_f64 v[127:128], v[133:134], s[16:17], v[127:128]
	;; [unrolled: 1-line block ×3, first 2 shown]
	s_delay_alu instid0(VALU_DEP_4) | instskip(NEXT) | instid1(VALU_DEP_4)
	v_fma_f64 v[125:126], v[131:132], s[14:15], v[125:126]
	v_fma_f64 v[119:120], v[135:136], s[14:15], v[119:120]
	s_delay_alu instid0(VALU_DEP_4) | instskip(NEXT) | instid1(VALU_DEP_4)
	v_fma_f64 v[127:128], v[135:136], s[8:9], v[127:128]
	v_fma_f64 v[117:118], v[121:122], s[20:21], v[117:118]
	s_delay_alu instid0(VALU_DEP_4) | instskip(SKIP_4) | instid1(VALU_DEP_4)
	v_fma_f64 v[121:122], v[121:122], s[20:21], v[125:126]
	v_add_f64 v[125:126], v[38:39], v[48:49]
	v_fma_f64 v[119:120], v[123:124], s[20:21], v[119:120]
	v_fma_f64 v[123:124], v[123:124], s[20:21], v[127:128]
	v_add_f64 v[127:128], v[36:37], v[50:51]
	v_fma_f64 v[125:126], v[125:126], -0.5, v[109:110]
	v_add_f64 v[109:110], v[109:110], v[38:39]
	s_delay_alu instid0(VALU_DEP_3) | instskip(SKIP_1) | instid1(VALU_DEP_3)
	v_fma_f64 v[127:128], v[127:128], -0.5, v[111:112]
	v_add_f64 v[111:112], v[111:112], v[36:37]
	v_add_f64 v[38:39], v[109:110], v[40:41]
	s_delay_alu instid0(VALU_DEP_3) | instskip(NEXT) | instid1(VALU_DEP_3)
	v_fma_f64 v[109:110], v[135:136], s[18:19], v[127:128]
	v_add_f64 v[40:41], v[111:112], v[42:43]
	v_add_f64 v[42:43], v[42:43], -v[36:37]
	s_delay_alu instid0(VALU_DEP_4) | instskip(NEXT) | instid1(VALU_DEP_3)
	v_add_f64 v[36:37], v[38:39], v[46:47]
	v_add_f64 v[38:39], v[40:41], v[44:45]
	v_add_f64 v[40:41], v[46:47], -v[48:49]
	s_delay_alu instid0(VALU_DEP_3)
	v_add_f64 v[36:37], v[36:37], v[48:49]
	v_add_f64 v[44:45], v[44:45], -v[50:51]
	v_fma_f64 v[48:49], v[131:132], s[16:17], v[125:126]
	v_fma_f64 v[46:47], v[131:132], s[18:19], v[125:126]
	v_add_f64 v[131:132], v[26:27], -v[28:29]
	v_add_f64 v[38:39], v[38:39], v[50:51]
	v_fma_f64 v[50:51], v[135:136], s[16:17], v[127:128]
	v_add_f64 v[111:112], v[137:138], v[40:41]
	v_add_f64 v[125:126], v[42:43], v[44:45]
	v_fma_f64 v[44:45], v[129:130], s[14:15], v[48:49]
	v_add_f64 v[48:49], v[22:23], -v[24:25]
	v_fma_f64 v[40:41], v[129:130], s[8:9], v[46:47]
	v_fma_f64 v[46:47], v[133:134], s[8:9], v[109:110]
	v_add_f64 v[129:130], v[20:21], -v[34:35]
	v_add_f64 v[135:136], v[24:25], -v[30:31]
	;; [unrolled: 1-line block ×3, first 2 shown]
	v_fma_f64 v[42:43], v[133:134], s[14:15], v[50:51]
	v_add_f64 v[50:51], v[32:33], -v[30:31]
	v_add_f64 v[133:134], v[22:23], -v[32:33]
	v_fma_f64 v[44:45], v[111:112], s[20:21], v[44:45]
	v_fma_f64 v[40:41], v[111:112], s[20:21], v[40:41]
	;; [unrolled: 1-line block ×4, first 2 shown]
	v_add_f64 v[109:110], v[48:49], v[50:51]
	v_add_f64 v[48:49], v[20:21], -v[26:27]
	v_add_f64 v[50:51], v[34:35], -v[28:29]
	s_delay_alu instid0(VALU_DEP_1) | instskip(SKIP_1) | instid1(VALU_DEP_1)
	v_add_f64 v[111:112], v[48:49], v[50:51]
	v_add_f64 v[48:49], v[24:25], v[30:31]
	v_fma_f64 v[125:126], v[48:49], -0.5, v[113:114]
	v_add_f64 v[48:49], v[26:27], v[28:29]
	s_delay_alu instid0(VALU_DEP_1) | instskip(NEXT) | instid1(VALU_DEP_3)
	v_fma_f64 v[127:128], v[48:49], -0.5, v[115:116]
	v_fma_f64 v[48:49], v[129:130], s[16:17], v[125:126]
	v_fma_f64 v[125:126], v[129:130], s[18:19], v[125:126]
	s_delay_alu instid0(VALU_DEP_3) | instskip(SKIP_1) | instid1(VALU_DEP_4)
	v_fma_f64 v[50:51], v[133:134], s[18:19], v[127:128]
	v_fma_f64 v[127:128], v[133:134], s[16:17], v[127:128]
	;; [unrolled: 1-line block ×3, first 2 shown]
	s_delay_alu instid0(VALU_DEP_4) | instskip(NEXT) | instid1(VALU_DEP_4)
	v_fma_f64 v[125:126], v[131:132], s[14:15], v[125:126]
	v_fma_f64 v[50:51], v[135:136], s[14:15], v[50:51]
	s_delay_alu instid0(VALU_DEP_4) | instskip(NEXT) | instid1(VALU_DEP_4)
	v_fma_f64 v[127:128], v[135:136], s[8:9], v[127:128]
	v_fma_f64 v[48:49], v[109:110], s[20:21], v[48:49]
	s_delay_alu instid0(VALU_DEP_4) | instskip(SKIP_4) | instid1(VALU_DEP_4)
	v_fma_f64 v[109:110], v[109:110], s[20:21], v[125:126]
	v_add_f64 v[125:126], v[22:23], v[32:33]
	v_fma_f64 v[50:51], v[111:112], s[20:21], v[50:51]
	v_fma_f64 v[111:112], v[111:112], s[20:21], v[127:128]
	v_add_f64 v[127:128], v[20:21], v[34:35]
	v_fma_f64 v[125:126], v[125:126], -0.5, v[113:114]
	v_add_f64 v[113:114], v[113:114], v[22:23]
	s_delay_alu instid0(VALU_DEP_3) | instskip(SKIP_1) | instid1(VALU_DEP_3)
	v_fma_f64 v[127:128], v[127:128], -0.5, v[115:116]
	v_add_f64 v[115:116], v[115:116], v[20:21]
	v_add_f64 v[22:23], v[113:114], v[24:25]
	s_delay_alu instid0(VALU_DEP_3) | instskip(NEXT) | instid1(VALU_DEP_3)
	v_fma_f64 v[113:114], v[135:136], s[18:19], v[127:128]
	v_add_f64 v[24:25], v[115:116], v[26:27]
	v_add_f64 v[26:27], v[26:27], -v[20:21]
	s_delay_alu instid0(VALU_DEP_4) | instskip(NEXT) | instid1(VALU_DEP_3)
	v_add_f64 v[20:21], v[22:23], v[30:31]
	v_add_f64 v[22:23], v[24:25], v[28:29]
	v_add_f64 v[24:25], v[30:31], -v[32:33]
	v_add_f64 v[28:29], v[28:29], -v[34:35]
	v_fma_f64 v[30:31], v[131:132], s[18:19], v[125:126]
	v_add_f64 v[20:21], v[20:21], v[32:33]
	v_fma_f64 v[32:33], v[131:132], s[16:17], v[125:126]
	v_add_f64 v[22:23], v[22:23], v[34:35]
	;; [unrolled: 2-line block ×3, first 2 shown]
	v_add_f64 v[125:126], v[26:27], v[28:29]
	v_fma_f64 v[24:25], v[129:130], s[8:9], v[30:31]
	v_fma_f64 v[28:29], v[129:130], s[14:15], v[32:33]
	;; [unrolled: 1-line block ×3, first 2 shown]
	v_and_b32_e32 v32, 0xffff, v62
	s_delay_alu instid0(VALU_DEP_1) | instskip(NEXT) | instid1(VALU_DEP_1)
	v_mul_u32_u24_e32 v32, 55, v32
	v_add_lshl_u32 v32, v32, v63, 4
	ds_store_b128 v32, v[69:72]
	ds_store_b128 v32, v[77:80] offset:176
	ds_store_b128 v32, v[85:88] offset:352
	;; [unrolled: 1-line block ×3, first 2 shown]
	scratch_store_b32 off, v32, off offset:904 ; 4-byte Folded Spill
	ds_store_b128 v32, v[81:84] offset:704
	v_and_b32_e32 v32, 0xffff, v64
	s_delay_alu instid0(VALU_DEP_1) | instskip(NEXT) | instid1(VALU_DEP_1)
	v_mul_u32_u24_e32 v32, 55, v32
	v_add_lshl_u32 v32, v32, v65, 4
	ds_store_b128 v32, v[73:76]
	ds_store_b128 v32, v[93:96] offset:176
	ds_store_b128 v32, v[101:104] offset:352
	;; [unrolled: 1-line block ×3, first 2 shown]
	v_fma_f64 v[26:27], v[133:134], s[14:15], v[34:35]
	v_fma_f64 v[24:25], v[115:116], s[20:21], v[24:25]
	;; [unrolled: 1-line block ×4, first 2 shown]
	scratch_store_b32 off, v32, off offset:900 ; 4-byte Folded Spill
	ds_store_b128 v32, v[97:100] offset:704
	v_and_b32_e32 v32, 0xffff, v55
	s_delay_alu instid0(VALU_DEP_1) | instskip(NEXT) | instid1(VALU_DEP_1)
	v_mul_u32_u24_e32 v32, 55, v32
	v_add_lshl_u32 v32, v32, v66, 4
	ds_store_b128 v32, v[36:39]
	ds_store_b128 v32, v[117:120] offset:176
	ds_store_b128 v32, v[40:43] offset:352
	;; [unrolled: 1-line block ×3, first 2 shown]
	scratch_store_b32 off, v32, off offset:896 ; 4-byte Folded Spill
	ds_store_b128 v32, v[121:124] offset:704
	v_and_b32_e32 v32, 0xffff, v67
	s_delay_alu instid0(VALU_DEP_1) | instskip(NEXT) | instid1(VALU_DEP_1)
	v_mul_u32_u24_e32 v32, 55, v32
	v_add_lshl_u32 v32, v32, v68, 4
	v_fma_f64 v[26:27], v[125:126], s[20:21], v[26:27]
	ds_store_b128 v32, v[20:23]
	ds_store_b128 v32, v[48:51] offset:176
	ds_store_b128 v32, v[24:27] offset:352
	;; [unrolled: 1-line block ×3, first 2 shown]
	v_mad_u16 v20, v58, 55, v59
	scratch_store_b32 off, v32, off offset:716 ; 4-byte Folded Spill
	ds_store_b128 v32, v[109:112] offset:704
	v_and_b32_e32 v20, 0xffff, v20
	s_delay_alu instid0(VALU_DEP_1)
	v_lshlrev_b32_e32 v21, 4, v20
	v_lshlrev_b32_e32 v20, 6, v139
	ds_store_b128 v21, v[8:11]
	ds_store_b128 v21, v[0:3] offset:176
	ds_store_b128 v21, v[12:15] offset:352
	ds_store_b128 v21, v[16:19] offset:528
	scratch_store_b32 off, v21, off offset:696 ; 4-byte Folded Spill
	ds_store_b128 v21, v[4:7] offset:704
	s_waitcnt lgkmcnt(0)
	s_waitcnt_vscnt null, 0x0
	s_barrier
	buffer_gl0_inv
	s_clause 0x1
	global_load_b128 v[164:167], v20, s[2:3] offset:704
	global_load_b128 v[160:163], v20, s[2:3] offset:720
	ds_load_b128 v[0:3], v200 offset:4400
	ds_load_b128 v[16:19], v200 offset:3520
	s_waitcnt vmcnt(1) lgkmcnt(1)
	v_mul_f64 v[4:5], v[2:3], v[166:167]
	v_mul_f64 v[6:7], v[0:1], v[166:167]
	s_delay_alu instid0(VALU_DEP_2) | instskip(NEXT) | instid1(VALU_DEP_2)
	v_fma_f64 v[37:38], v[0:1], v[164:165], -v[4:5]
	v_fma_f64 v[39:40], v[2:3], v[164:165], v[6:7]
	ds_load_b128 v[0:3], v200 offset:8800
	ds_load_b128 v[4:7], v200 offset:9680
	s_clause 0x1
	global_load_b128 v[220:223], v20, s[2:3] offset:736
	global_load_b128 v[216:219], v20, s[2:3] offset:752
	s_waitcnt vmcnt(2) lgkmcnt(1)
	v_mul_f64 v[8:9], v[2:3], v[162:163]
	s_delay_alu instid0(VALU_DEP_1) | instskip(SKIP_1) | instid1(VALU_DEP_1)
	v_fma_f64 v[41:42], v[0:1], v[160:161], -v[8:9]
	v_mul_f64 v[0:1], v[0:1], v[162:163]
	v_fma_f64 v[43:44], v[2:3], v[160:161], v[0:1]
	ds_load_b128 v[0:3], v200 offset:13200
	ds_load_b128 v[12:15], v200 offset:12320
	s_waitcnt vmcnt(1) lgkmcnt(1)
	v_mul_f64 v[8:9], v[2:3], v[222:223]
	s_delay_alu instid0(VALU_DEP_1) | instskip(SKIP_1) | instid1(VALU_DEP_2)
	v_fma_f64 v[45:46], v[0:1], v[220:221], -v[8:9]
	v_mul_f64 v[0:1], v[0:1], v[222:223]
	v_add_f64 v[88:89], v[41:42], -v[45:46]
	s_delay_alu instid0(VALU_DEP_2)
	v_fma_f64 v[47:48], v[2:3], v[220:221], v[0:1]
	ds_load_b128 v[0:3], v200 offset:17600
	ds_load_b128 v[8:11], v200 offset:18480
	s_waitcnt vmcnt(0) lgkmcnt(1)
	v_mul_f64 v[21:22], v[2:3], v[218:219]
	v_add_f64 v[84:85], v[43:44], -v[47:48]
	s_delay_alu instid0(VALU_DEP_2) | instskip(SKIP_1) | instid1(VALU_DEP_2)
	v_fma_f64 v[49:50], v[0:1], v[216:217], -v[21:22]
	v_mul_f64 v[0:1], v[0:1], v[218:219]
	v_add_f64 v[86:87], v[37:38], -v[49:50]
	s_delay_alu instid0(VALU_DEP_2)
	v_fma_f64 v[58:59], v[2:3], v[216:217], v[0:1]
	ds_load_b128 v[0:3], v200 offset:5280
	ds_load_b128 v[21:24], v200 offset:6160
	s_waitcnt lgkmcnt(1)
	v_mul_f64 v[25:26], v[2:3], v[166:167]
	v_add_f64 v[82:83], v[39:40], -v[58:59]
	s_delay_alu instid0(VALU_DEP_2) | instskip(SKIP_1) | instid1(VALU_DEP_1)
	v_fma_f64 v[66:67], v[0:1], v[164:165], -v[25:26]
	v_mul_f64 v[0:1], v[0:1], v[166:167]
	v_fma_f64 v[68:69], v[2:3], v[164:165], v[0:1]
	v_mul_f64 v[0:1], v[6:7], v[162:163]
	s_delay_alu instid0(VALU_DEP_1) | instskip(SKIP_1) | instid1(VALU_DEP_1)
	v_fma_f64 v[70:71], v[4:5], v[160:161], -v[0:1]
	v_mul_f64 v[0:1], v[4:5], v[162:163]
	v_fma_f64 v[72:73], v[6:7], v[160:161], v[0:1]
	ds_load_b128 v[0:3], v200 offset:14080
	ds_load_b128 v[4:7], v200 offset:14960
	s_waitcnt lgkmcnt(1)
	v_mul_f64 v[25:26], v[2:3], v[222:223]
	s_delay_alu instid0(VALU_DEP_1) | instskip(SKIP_1) | instid1(VALU_DEP_1)
	v_fma_f64 v[74:75], v[0:1], v[220:221], -v[25:26]
	v_mul_f64 v[0:1], v[0:1], v[222:223]
	v_fma_f64 v[76:77], v[2:3], v[220:221], v[0:1]
	v_mul_f64 v[0:1], v[10:11], v[218:219]
	s_delay_alu instid0(VALU_DEP_1) | instskip(SKIP_1) | instid1(VALU_DEP_1)
	v_fma_f64 v[78:79], v[8:9], v[216:217], -v[0:1]
	v_mul_f64 v[0:1], v[8:9], v[218:219]
	v_fma_f64 v[80:81], v[10:11], v[216:217], v[0:1]
	v_mul_lo_u16 v0, 0x95, v53
	s_delay_alu instid0(VALU_DEP_1) | instskip(NEXT) | instid1(VALU_DEP_1)
	v_lshrrev_b16 v0, 13, v0
	v_mul_lo_u16 v0, v0, 55
	s_delay_alu instid0(VALU_DEP_1) | instskip(NEXT) | instid1(VALU_DEP_1)
	v_sub_nc_u16 v0, v56, v0
	v_and_b32_e32 v51, 0xff, v0
	s_delay_alu instid0(VALU_DEP_1)
	v_lshlrev_b32_e32 v25, 6, v51
	s_clause 0x1
	global_load_b128 v[8:11], v25, s[2:3] offset:704
	global_load_b128 v[26:29], v25, s[2:3] offset:720
	v_lshlrev_b32_e32 v201, 4, v51
	s_waitcnt vmcnt(1)
	v_mul_f64 v[0:1], v[23:24], v[10:11]
	scratch_store_b128 off, v[8:11], off offset:948 ; 16-byte Folded Spill
	v_fma_f64 v[90:91], v[21:22], v[8:9], -v[0:1]
	v_mul_f64 v[0:1], v[21:22], v[10:11]
	s_delay_alu instid0(VALU_DEP_1)
	v_fma_f64 v[92:93], v[23:24], v[8:9], v[0:1]
	ds_load_b128 v[0:3], v200 offset:10560
	ds_load_b128 v[8:11], v200 offset:11440
	s_waitcnt vmcnt(0)
	scratch_store_b128 off, v[26:29], off offset:916 ; 16-byte Folded Spill
	s_waitcnt lgkmcnt(1)
	v_mul_f64 v[21:22], v[2:3], v[28:29]
	s_delay_alu instid0(VALU_DEP_1) | instskip(SKIP_1) | instid1(VALU_DEP_1)
	v_fma_f64 v[94:95], v[0:1], v[26:27], -v[21:22]
	v_mul_f64 v[0:1], v[0:1], v[28:29]
	v_fma_f64 v[96:97], v[2:3], v[26:27], v[0:1]
	s_clause 0x1
	global_load_b128 v[27:30], v25, s[2:3] offset:736
	global_load_b128 v[23:26], v25, s[2:3] offset:752
	s_waitcnt vmcnt(1)
	v_mul_f64 v[0:1], v[6:7], v[29:30]
	scratch_store_b128 off, v[27:30], off offset:964 ; 16-byte Folded Spill
	v_fma_f64 v[98:99], v[4:5], v[27:28], -v[0:1]
	v_mul_f64 v[0:1], v[4:5], v[29:30]
	s_delay_alu instid0(VALU_DEP_2) | instskip(NEXT) | instid1(VALU_DEP_2)
	v_add_f64 v[116:117], v[94:95], -v[98:99]
	v_fma_f64 v[100:101], v[6:7], v[27:28], v[0:1]
	ds_load_b128 v[0:3], v200 offset:19360
	ds_load_b128 v[4:7], v200 offset:20240
	s_waitcnt vmcnt(0)
	scratch_store_b128 off, v[23:26], off offset:932 ; 16-byte Folded Spill
	s_waitcnt lgkmcnt(1)
	v_mul_f64 v[21:22], v[2:3], v[25:26]
	v_add_f64 v[112:113], v[96:97], -v[100:101]
	s_delay_alu instid0(VALU_DEP_2) | instskip(SKIP_1) | instid1(VALU_DEP_2)
	v_fma_f64 v[102:103], v[0:1], v[23:24], -v[21:22]
	v_mul_f64 v[0:1], v[0:1], v[25:26]
	v_add_f64 v[114:115], v[90:91], -v[102:103]
	s_delay_alu instid0(VALU_DEP_2) | instskip(SKIP_1) | instid1(VALU_DEP_1)
	v_fma_f64 v[104:105], v[2:3], v[23:24], v[0:1]
	v_mul_lo_u16 v0, 0x95, v54
	v_lshrrev_b16 v0, 13, v0
	s_delay_alu instid0(VALU_DEP_1) | instskip(NEXT) | instid1(VALU_DEP_1)
	v_mul_lo_u16 v0, v0, 55
	v_sub_nc_u16 v0, v52, v0
	s_delay_alu instid0(VALU_DEP_1) | instskip(NEXT) | instid1(VALU_DEP_1)
	v_and_b32_e32 v55, 0xff, v0
	v_lshlrev_b32_e32 v27, 6, v55
	s_clause 0x1
	global_load_b128 v[32:35], v27, s[2:3] offset:704
	global_load_b128 v[28:31], v27, s[2:3] offset:720
	ds_load_b128 v[0:3], v200 offset:7040
	ds_load_b128 v[21:24], v200 offset:7920
	v_add_f64 v[110:111], v[92:93], -v[104:105]
	s_waitcnt vmcnt(1) lgkmcnt(1)
	v_mul_f64 v[25:26], v[2:3], v[34:35]
	scratch_store_b128 off, v[32:35], off offset:1012 ; 16-byte Folded Spill
	s_waitcnt vmcnt(0)
	scratch_store_b128 off, v[28:31], off offset:980 ; 16-byte Folded Spill
	v_fma_f64 v[53:54], v[0:1], v[32:33], -v[25:26]
	v_mul_f64 v[0:1], v[0:1], v[34:35]
	s_delay_alu instid0(VALU_DEP_1) | instskip(SKIP_1) | instid1(VALU_DEP_1)
	v_fma_f64 v[106:107], v[2:3], v[32:33], v[0:1]
	v_mul_f64 v[0:1], v[10:11], v[30:31]
	v_fma_f64 v[108:109], v[8:9], v[28:29], -v[0:1]
	v_mul_f64 v[0:1], v[8:9], v[30:31]
	s_delay_alu instid0(VALU_DEP_1)
	v_fma_f64 v[8:9], v[10:11], v[28:29], v[0:1]
	s_clause 0x1
	global_load_b128 v[33:36], v27, s[2:3] offset:736
	global_load_b128 v[29:32], v27, s[2:3] offset:752
	ds_load_b128 v[0:3], v200 offset:15840
	ds_load_b128 v[25:28], v200 offset:16720
	s_waitcnt vmcnt(1) lgkmcnt(1)
	v_mul_f64 v[10:11], v[2:3], v[35:36]
	scratch_store_b128 off, v[33:36], off offset:1028 ; 16-byte Folded Spill
	s_waitcnt vmcnt(0)
	scratch_store_b128 off, v[29:32], off offset:996 ; 16-byte Folded Spill
	v_fma_f64 v[10:11], v[0:1], v[33:34], -v[10:11]
	v_mul_f64 v[0:1], v[0:1], v[35:36]
	s_delay_alu instid0(VALU_DEP_1) | instskip(SKIP_1) | instid1(VALU_DEP_1)
	v_fma_f64 v[0:1], v[2:3], v[33:34], v[0:1]
	v_mul_f64 v[2:3], v[6:7], v[31:32]
	v_fma_f64 v[2:3], v[4:5], v[29:30], -v[2:3]
	v_mul_f64 v[4:5], v[4:5], v[31:32]
	s_delay_alu instid0(VALU_DEP_1) | instskip(SKIP_1) | instid1(VALU_DEP_1)
	v_fma_f64 v[4:5], v[6:7], v[29:30], v[4:5]
	v_mul_u32_u24_e32 v6, 0x29e5, v57
	v_lshrrev_b32_e32 v6, 16, v6
	s_delay_alu instid0(VALU_DEP_1) | instskip(NEXT) | instid1(VALU_DEP_1)
	v_sub_nc_u16 v7, v61, v6
	v_lshrrev_b16 v7, 1, v7
	s_delay_alu instid0(VALU_DEP_1) | instskip(NEXT) | instid1(VALU_DEP_1)
	v_add_nc_u16 v6, v7, v6
	v_lshrrev_b16 v6, 5, v6
	s_delay_alu instid0(VALU_DEP_1) | instskip(NEXT) | instid1(VALU_DEP_1)
	v_mul_lo_u16 v6, v6, 55
	v_sub_nc_u16 v134, v61, v6
	s_delay_alu instid0(VALU_DEP_1) | instskip(NEXT) | instid1(VALU_DEP_1)
	v_lshlrev_b16 v6, 6, v134
	v_and_b32_e32 v6, 0xffff, v6
	s_delay_alu instid0(VALU_DEP_1) | instskip(NEXT) | instid1(VALU_DEP_1)
	v_add_co_u32 v6, s0, s2, v6
	v_add_co_ci_u32_e64 v7, null, s3, 0, s0
	s_clause 0x1
	global_load_b128 v[62:65], v[6:7], off offset:704
	global_load_b128 v[31:34], v[6:7], off offset:720
	s_waitcnt vmcnt(1)
	v_mul_f64 v[29:30], v[23:24], v[64:65]
	scratch_store_b128 off, v[62:65], off offset:1076 ; 16-byte Folded Spill
	s_waitcnt vmcnt(0)
	scratch_store_b128 off, v[31:34], off offset:1044 ; 16-byte Folded Spill
	v_fma_f64 v[122:123], v[21:22], v[62:63], -v[29:30]
	v_mul_f64 v[21:22], v[21:22], v[64:65]
	s_delay_alu instid0(VALU_DEP_1) | instskip(SKIP_1) | instid1(VALU_DEP_1)
	v_fma_f64 v[124:125], v[23:24], v[62:63], v[21:22]
	v_mul_f64 v[21:22], v[14:15], v[33:34]
	v_fma_f64 v[126:127], v[12:13], v[31:32], -v[21:22]
	v_mul_f64 v[12:13], v[12:13], v[33:34]
	s_delay_alu instid0(VALU_DEP_1)
	v_fma_f64 v[12:13], v[14:15], v[31:32], v[12:13]
	s_clause 0x1
	global_load_b128 v[21:24], v[6:7], off offset:736
	global_load_b128 v[29:32], v[6:7], off offset:752
	s_waitcnt vmcnt(1) lgkmcnt(0)
	v_mul_f64 v[6:7], v[27:28], v[23:24]
	v_mul_f64 v[14:15], v[25:26], v[23:24]
	scratch_store_b128 off, v[21:24], off offset:1092 ; 16-byte Folded Spill
	s_waitcnt vmcnt(0)
	scratch_store_b128 off, v[29:32], off offset:1060 ; 16-byte Folded Spill
	v_fma_f64 v[6:7], v[25:26], v[21:22], -v[6:7]
	v_fma_f64 v[14:15], v[27:28], v[21:22], v[14:15]
	ds_load_b128 v[21:24], v200 offset:21120
	s_waitcnt lgkmcnt(0)
	v_mul_f64 v[25:26], v[23:24], v[31:32]
	v_add_f64 v[132:133], v[126:127], -v[6:7]
	s_delay_alu instid0(VALU_DEP_2) | instskip(SKIP_1) | instid1(VALU_DEP_1)
	v_fma_f64 v[128:129], v[21:22], v[29:30], -v[25:26]
	v_mul_f64 v[21:22], v[21:22], v[31:32]
	v_fma_f64 v[130:131], v[23:24], v[29:30], v[21:22]
	v_add_f64 v[21:22], v[37:38], -v[41:42]
	v_add_f64 v[23:24], v[49:50], -v[45:46]
	v_add_f64 v[29:30], v[41:42], v[45:46]
	s_delay_alu instid0(VALU_DEP_2) | instskip(SKIP_2) | instid1(VALU_DEP_1)
	v_add_f64 v[33:34], v[21:22], v[23:24]
	v_add_f64 v[21:22], v[39:40], -v[43:44]
	v_add_f64 v[23:24], v[58:59], -v[47:48]
	v_add_f64 v[35:36], v[21:22], v[23:24]
	ds_load_b128 v[21:24], v200
	ds_load_b128 v[25:28], v200 offset:880
	s_waitcnt lgkmcnt(1)
	v_fma_f64 v[62:63], v[29:30], -0.5, v[21:22]
	v_add_f64 v[29:30], v[43:44], v[47:48]
	s_delay_alu instid0(VALU_DEP_1) | instskip(NEXT) | instid1(VALU_DEP_3)
	v_fma_f64 v[64:65], v[29:30], -0.5, v[23:24]
	v_fma_f64 v[29:30], v[82:83], s[16:17], v[62:63]
	v_fma_f64 v[62:63], v[82:83], s[18:19], v[62:63]
	s_delay_alu instid0(VALU_DEP_3) | instskip(SKIP_1) | instid1(VALU_DEP_4)
	v_fma_f64 v[31:32], v[86:87], s[18:19], v[64:65]
	v_fma_f64 v[64:65], v[86:87], s[16:17], v[64:65]
	;; [unrolled: 1-line block ×3, first 2 shown]
	s_delay_alu instid0(VALU_DEP_4) | instskip(NEXT) | instid1(VALU_DEP_4)
	v_fma_f64 v[62:63], v[84:85], s[14:15], v[62:63]
	v_fma_f64 v[31:32], v[88:89], s[14:15], v[31:32]
	s_delay_alu instid0(VALU_DEP_4) | instskip(NEXT) | instid1(VALU_DEP_4)
	v_fma_f64 v[64:65], v[88:89], s[8:9], v[64:65]
	v_fma_f64 v[29:30], v[33:34], s[20:21], v[29:30]
	s_delay_alu instid0(VALU_DEP_4) | instskip(SKIP_4) | instid1(VALU_DEP_4)
	v_fma_f64 v[33:34], v[33:34], s[20:21], v[62:63]
	v_add_f64 v[62:63], v[37:38], v[49:50]
	v_fma_f64 v[31:32], v[35:36], s[20:21], v[31:32]
	v_fma_f64 v[35:36], v[35:36], s[20:21], v[64:65]
	v_add_f64 v[64:65], v[39:40], v[58:59]
	v_fma_f64 v[62:63], v[62:63], -0.5, v[21:22]
	v_add_f64 v[21:22], v[21:22], v[37:38]
	v_add_f64 v[37:38], v[41:42], -v[37:38]
	s_delay_alu instid0(VALU_DEP_4) | instskip(SKIP_4) | instid1(VALU_DEP_4)
	v_fma_f64 v[64:65], v[64:65], -0.5, v[23:24]
	v_add_f64 v[23:24], v[23:24], v[39:40]
	v_add_f64 v[39:40], v[43:44], -v[39:40]
	v_add_f64 v[21:22], v[21:22], v[41:42]
	v_add_f64 v[41:42], v[45:46], -v[49:50]
	;; [unrolled: 2-line block ×3, first 2 shown]
	s_delay_alu instid0(VALU_DEP_4)
	v_add_f64 v[21:22], v[21:22], v[45:46]
	v_fma_f64 v[45:46], v[84:85], s[18:19], v[62:63]
	v_add_f64 v[41:42], v[37:38], v[41:42]
	v_add_f64 v[23:24], v[23:24], v[47:48]
	v_fma_f64 v[47:48], v[84:85], s[16:17], v[62:63]
	v_add_f64 v[21:22], v[21:22], v[49:50]
	v_fma_f64 v[49:50], v[88:89], s[16:17], v[64:65]
	;; [unrolled: 2-line block ×3, first 2 shown]
	v_add_f64 v[84:85], v[72:73], -v[76:77]
	v_add_f64 v[23:24], v[23:24], v[58:59]
	v_fma_f64 v[57:58], v[88:89], s[18:19], v[64:65]
	v_fma_f64 v[45:46], v[82:83], s[14:15], v[47:48]
	;; [unrolled: 1-line block ×3, first 2 shown]
	v_add_f64 v[82:83], v[68:69], -v[80:81]
	v_fma_f64 v[37:38], v[41:42], s[20:21], v[37:38]
	v_add_f64 v[88:89], v[70:71], -v[74:75]
	v_fma_f64 v[47:48], v[86:87], s[8:9], v[57:58]
	v_fma_f64 v[41:42], v[41:42], s[20:21], v[45:46]
	;; [unrolled: 1-line block ×3, first 2 shown]
	v_add_f64 v[45:46], v[66:67], -v[70:71]
	v_add_f64 v[86:87], v[66:67], -v[78:79]
	v_fma_f64 v[43:44], v[43:44], s[20:21], v[47:48]
	v_add_f64 v[47:48], v[78:79], -v[74:75]
	s_delay_alu instid0(VALU_DEP_1) | instskip(SKIP_2) | instid1(VALU_DEP_1)
	v_add_f64 v[49:50], v[45:46], v[47:48]
	v_add_f64 v[45:46], v[68:69], -v[72:73]
	v_add_f64 v[47:48], v[80:81], -v[76:77]
	v_add_f64 v[57:58], v[45:46], v[47:48]
	v_add_f64 v[45:46], v[70:71], v[74:75]
	s_waitcnt lgkmcnt(0)
	s_delay_alu instid0(VALU_DEP_1) | instskip(SKIP_1) | instid1(VALU_DEP_1)
	v_fma_f64 v[62:63], v[45:46], -0.5, v[25:26]
	v_add_f64 v[45:46], v[72:73], v[76:77]
	v_fma_f64 v[64:65], v[45:46], -0.5, v[27:28]
	s_delay_alu instid0(VALU_DEP_3) | instskip(SKIP_1) | instid1(VALU_DEP_3)
	v_fma_f64 v[45:46], v[82:83], s[16:17], v[62:63]
	v_fma_f64 v[62:63], v[82:83], s[18:19], v[62:63]
	;; [unrolled: 1-line block ×4, first 2 shown]
	s_delay_alu instid0(VALU_DEP_4) | instskip(NEXT) | instid1(VALU_DEP_4)
	v_fma_f64 v[45:46], v[84:85], s[8:9], v[45:46]
	v_fma_f64 v[62:63], v[84:85], s[14:15], v[62:63]
	s_delay_alu instid0(VALU_DEP_4) | instskip(NEXT) | instid1(VALU_DEP_4)
	v_fma_f64 v[47:48], v[88:89], s[14:15], v[47:48]
	v_fma_f64 v[64:65], v[88:89], s[8:9], v[64:65]
	;; [unrolled: 3-line block ×3, first 2 shown]
	v_add_f64 v[49:50], v[66:67], v[78:79]
	v_fma_f64 v[47:48], v[57:58], s[20:21], v[47:48]
	v_fma_f64 v[64:65], v[57:58], s[20:21], v[64:65]
	v_add_f64 v[57:58], v[68:69], v[80:81]
	s_delay_alu instid0(VALU_DEP_4) | instskip(SKIP_2) | instid1(VALU_DEP_4)
	v_fma_f64 v[49:50], v[49:50], -0.5, v[25:26]
	v_add_f64 v[25:26], v[25:26], v[66:67]
	v_add_f64 v[66:67], v[70:71], -v[66:67]
	v_fma_f64 v[57:58], v[57:58], -0.5, v[27:28]
	v_add_f64 v[27:28], v[27:28], v[68:69]
	v_add_f64 v[68:69], v[72:73], -v[68:69]
	v_add_f64 v[25:26], v[25:26], v[70:71]
	v_add_f64 v[70:71], v[74:75], -v[78:79]
	s_delay_alu instid0(VALU_DEP_4) | instskip(SKIP_1) | instid1(VALU_DEP_4)
	v_add_f64 v[27:28], v[27:28], v[72:73]
	v_add_f64 v[72:73], v[76:77], -v[80:81]
	v_add_f64 v[25:26], v[25:26], v[74:75]
	v_fma_f64 v[74:75], v[84:85], s[18:19], v[49:50]
	v_fma_f64 v[49:50], v[84:85], s[16:17], v[49:50]
	v_add_f64 v[70:71], v[66:67], v[70:71]
	v_add_f64 v[27:28], v[27:28], v[76:77]
	v_fma_f64 v[76:77], v[88:89], s[16:17], v[57:58]
	v_fma_f64 v[57:58], v[88:89], s[18:19], v[57:58]
	v_add_f64 v[72:73], v[68:69], v[72:73]
	v_fma_f64 v[66:67], v[82:83], s[8:9], v[74:75]
	v_fma_f64 v[49:50], v[82:83], s[14:15], v[49:50]
	v_add_f64 v[74:75], v[104:105], -v[100:101]
	v_add_f64 v[82:83], v[94:95], v[98:99]
	v_add_f64 v[25:26], v[25:26], v[78:79]
	;; [unrolled: 1-line block ×3, first 2 shown]
	v_fma_f64 v[68:69], v[86:87], s[14:15], v[76:77]
	v_fma_f64 v[57:58], v[86:87], s[8:9], v[57:58]
	;; [unrolled: 1-line block ×4, first 2 shown]
	v_add_f64 v[49:50], v[90:91], -v[94:95]
	v_fma_f64 v[68:69], v[72:73], s[20:21], v[68:69]
	v_fma_f64 v[72:73], v[72:73], s[20:21], v[57:58]
	v_add_f64 v[57:58], v[102:103], -v[98:99]
	s_delay_alu instid0(VALU_DEP_1) | instskip(SKIP_1) | instid1(VALU_DEP_1)
	v_add_f64 v[49:50], v[49:50], v[57:58]
	v_add_f64 v[57:58], v[92:93], -v[96:97]
	v_add_f64 v[57:58], v[57:58], v[74:75]
	ds_load_b128 v[74:77], v200 offset:1760
	ds_load_b128 v[78:81], v200 offset:2640
	s_waitcnt lgkmcnt(0)
	s_waitcnt_vscnt null, 0x0
	s_barrier
	buffer_gl0_inv
	ds_store_b128 v200, v[21:24]
	ds_store_b128 v200, v[29:32] offset:880
	ds_store_b128 v200, v[37:40] offset:1760
	;; [unrolled: 1-line block ×9, first 2 shown]
	v_fma_f64 v[86:87], v[82:83], -0.5, v[74:75]
	v_add_f64 v[82:83], v[96:97], v[100:101]
	s_delay_alu instid0(VALU_DEP_1) | instskip(NEXT) | instid1(VALU_DEP_3)
	v_fma_f64 v[88:89], v[82:83], -0.5, v[76:77]
	v_fma_f64 v[82:83], v[110:111], s[16:17], v[86:87]
	v_fma_f64 v[86:87], v[110:111], s[18:19], v[86:87]
	s_delay_alu instid0(VALU_DEP_3) | instskip(SKIP_1) | instid1(VALU_DEP_4)
	v_fma_f64 v[84:85], v[114:115], s[18:19], v[88:89]
	v_fma_f64 v[88:89], v[114:115], s[16:17], v[88:89]
	v_fma_f64 v[82:83], v[112:113], s[8:9], v[82:83]
	s_delay_alu instid0(VALU_DEP_4) | instskip(NEXT) | instid1(VALU_DEP_4)
	v_fma_f64 v[86:87], v[112:113], s[14:15], v[86:87]
	v_fma_f64 v[84:85], v[116:117], s[14:15], v[84:85]
	s_delay_alu instid0(VALU_DEP_4) | instskip(NEXT) | instid1(VALU_DEP_4)
	v_fma_f64 v[88:89], v[116:117], s[8:9], v[88:89]
	v_fma_f64 v[82:83], v[49:50], s[20:21], v[82:83]
	s_delay_alu instid0(VALU_DEP_4) | instskip(SKIP_4) | instid1(VALU_DEP_4)
	v_fma_f64 v[86:87], v[49:50], s[20:21], v[86:87]
	v_add_f64 v[49:50], v[90:91], v[102:103]
	v_fma_f64 v[84:85], v[57:58], s[20:21], v[84:85]
	v_fma_f64 v[88:89], v[57:58], s[20:21], v[88:89]
	v_add_f64 v[57:58], v[92:93], v[104:105]
	v_fma_f64 v[49:50], v[49:50], -0.5, v[74:75]
	v_add_f64 v[74:75], v[74:75], v[90:91]
	v_add_f64 v[90:91], v[94:95], -v[90:91]
	s_delay_alu instid0(VALU_DEP_4) | instskip(SKIP_4) | instid1(VALU_DEP_4)
	v_fma_f64 v[57:58], v[57:58], -0.5, v[76:77]
	v_add_f64 v[76:77], v[76:77], v[92:93]
	v_add_f64 v[92:93], v[96:97], -v[92:93]
	v_add_f64 v[74:75], v[74:75], v[94:95]
	v_add_f64 v[94:95], v[98:99], -v[102:103]
	;; [unrolled: 2-line block ×3, first 2 shown]
	s_delay_alu instid0(VALU_DEP_4)
	v_add_f64 v[74:75], v[74:75], v[98:99]
	v_fma_f64 v[98:99], v[112:113], s[18:19], v[49:50]
	v_fma_f64 v[49:50], v[112:113], s[16:17], v[49:50]
	v_add_f64 v[94:95], v[90:91], v[94:95]
	v_add_f64 v[112:113], v[8:9], -v[0:1]
	v_add_f64 v[76:77], v[76:77], v[100:101]
	v_fma_f64 v[100:101], v[116:117], s[16:17], v[57:58]
	v_fma_f64 v[57:58], v[116:117], s[18:19], v[57:58]
	v_add_f64 v[96:97], v[92:93], v[96:97]
	v_fma_f64 v[90:91], v[110:111], s[8:9], v[98:99]
	v_fma_f64 v[49:50], v[110:111], s[14:15], v[49:50]
	v_add_f64 v[98:99], v[4:5], -v[0:1]
	v_add_f64 v[74:75], v[74:75], v[102:103]
	v_add_f64 v[110:111], v[106:107], -v[4:5]
	v_add_f64 v[116:117], v[108:109], -v[10:11]
	v_add_f64 v[76:77], v[76:77], v[104:105]
	v_fma_f64 v[92:93], v[114:115], s[14:15], v[100:101]
	v_fma_f64 v[57:58], v[114:115], s[8:9], v[57:58]
	v_add_f64 v[114:115], v[53:54], -v[2:3]
	v_fma_f64 v[90:91], v[94:95], s[20:21], v[90:91]
	v_fma_f64 v[94:95], v[94:95], s[20:21], v[49:50]
	v_add_f64 v[49:50], v[53:54], -v[108:109]
	;; [unrolled: 3-line block ×3, first 2 shown]
	ds_store_b128 v201, v[74:77] offset:8800
	ds_store_b128 v201, v[82:85] offset:9680
	;; [unrolled: 1-line block ×4, first 2 shown]
	v_add_f64 v[49:50], v[49:50], v[57:58]
	v_add_f64 v[57:58], v[106:107], -v[8:9]
	s_delay_alu instid0(VALU_DEP_1) | instskip(SKIP_1) | instid1(VALU_DEP_1)
	v_add_f64 v[57:58], v[57:58], v[98:99]
	v_add_f64 v[98:99], v[108:109], v[10:11]
	v_fma_f64 v[102:103], v[98:99], -0.5, v[78:79]
	v_add_f64 v[98:99], v[8:9], v[0:1]
	s_delay_alu instid0(VALU_DEP_1) | instskip(NEXT) | instid1(VALU_DEP_3)
	v_fma_f64 v[104:105], v[98:99], -0.5, v[80:81]
	v_fma_f64 v[98:99], v[110:111], s[16:17], v[102:103]
	v_fma_f64 v[102:103], v[110:111], s[18:19], v[102:103]
	s_delay_alu instid0(VALU_DEP_3) | instskip(SKIP_1) | instid1(VALU_DEP_4)
	v_fma_f64 v[100:101], v[114:115], s[18:19], v[104:105]
	v_fma_f64 v[104:105], v[114:115], s[16:17], v[104:105]
	;; [unrolled: 1-line block ×3, first 2 shown]
	s_delay_alu instid0(VALU_DEP_4) | instskip(NEXT) | instid1(VALU_DEP_4)
	v_fma_f64 v[102:103], v[112:113], s[14:15], v[102:103]
	v_fma_f64 v[100:101], v[116:117], s[14:15], v[100:101]
	s_delay_alu instid0(VALU_DEP_4) | instskip(NEXT) | instid1(VALU_DEP_4)
	v_fma_f64 v[104:105], v[116:117], s[8:9], v[104:105]
	v_fma_f64 v[98:99], v[49:50], s[20:21], v[98:99]
	s_delay_alu instid0(VALU_DEP_4) | instskip(SKIP_4) | instid1(VALU_DEP_4)
	v_fma_f64 v[102:103], v[49:50], s[20:21], v[102:103]
	v_add_f64 v[49:50], v[53:54], v[2:3]
	v_fma_f64 v[100:101], v[57:58], s[20:21], v[100:101]
	v_fma_f64 v[104:105], v[57:58], s[20:21], v[104:105]
	v_add_f64 v[57:58], v[106:107], v[4:5]
	v_fma_f64 v[49:50], v[49:50], -0.5, v[78:79]
	v_add_f64 v[78:79], v[78:79], v[53:54]
	v_add_f64 v[53:54], v[108:109], -v[53:54]
	s_delay_alu instid0(VALU_DEP_4) | instskip(SKIP_1) | instid1(VALU_DEP_4)
	v_fma_f64 v[57:58], v[57:58], -0.5, v[80:81]
	v_add_f64 v[80:81], v[80:81], v[106:107]
	v_add_f64 v[78:79], v[78:79], v[108:109]
	s_delay_alu instid0(VALU_DEP_2) | instskip(SKIP_1) | instid1(VALU_DEP_3)
	v_add_f64 v[80:81], v[80:81], v[8:9]
	v_add_f64 v[8:9], v[8:9], -v[106:107]
	v_add_f64 v[78:79], v[78:79], v[10:11]
	v_add_f64 v[10:11], v[10:11], -v[2:3]
	s_delay_alu instid0(VALU_DEP_4) | instskip(SKIP_1) | instid1(VALU_DEP_4)
	v_add_f64 v[80:81], v[80:81], v[0:1]
	v_add_f64 v[0:1], v[0:1], -v[4:5]
	v_add_f64 v[78:79], v[78:79], v[2:3]
	v_fma_f64 v[2:3], v[112:113], s[18:19], v[49:50]
	v_add_f64 v[10:11], v[53:54], v[10:11]
	v_add_f64 v[80:81], v[80:81], v[4:5]
	v_fma_f64 v[4:5], v[112:113], s[16:17], v[49:50]
	v_fma_f64 v[49:50], v[116:117], s[16:17], v[57:58]
	;; [unrolled: 1-line block ×3, first 2 shown]
	v_add_f64 v[0:1], v[8:9], v[0:1]
	v_fma_f64 v[2:3], v[110:111], s[8:9], v[2:3]
	v_fma_f64 v[4:5], v[110:111], s[14:15], v[4:5]
	;; [unrolled: 1-line block ×4, first 2 shown]
	v_add_f64 v[57:58], v[122:123], -v[128:129]
	v_fma_f64 v[106:107], v[10:11], s[20:21], v[2:3]
	v_add_f64 v[2:3], v[128:129], -v[6:7]
	v_fma_f64 v[110:111], v[10:11], s[20:21], v[4:5]
	v_fma_f64 v[108:109], v[0:1], s[20:21], v[8:9]
	;; [unrolled: 1-line block ×3, first 2 shown]
	v_add_f64 v[0:1], v[122:123], -v[126:127]
	v_add_f64 v[4:5], v[130:131], -v[14:15]
	v_add_f64 v[8:9], v[12:13], v[14:15]
	v_add_f64 v[10:11], v[124:125], -v[130:131]
	v_add_f64 v[49:50], v[12:13], -v[14:15]
	v_add_f64 v[0:1], v[0:1], v[2:3]
	v_add_f64 v[2:3], v[124:125], -v[12:13]
	v_fma_f64 v[8:9], v[8:9], -0.5, v[18:19]
	s_delay_alu instid0(VALU_DEP_2) | instskip(SKIP_1) | instid1(VALU_DEP_3)
	v_add_f64 v[2:3], v[2:3], v[4:5]
	v_add_f64 v[4:5], v[126:127], v[6:7]
	v_fma_f64 v[114:115], v[57:58], s[18:19], v[8:9]
	v_fma_f64 v[8:9], v[57:58], s[16:17], v[8:9]
	s_delay_alu instid0(VALU_DEP_3) | instskip(NEXT) | instid1(VALU_DEP_3)
	v_fma_f64 v[4:5], v[4:5], -0.5, v[16:17]
	v_fma_f64 v[116:117], v[132:133], s[14:15], v[114:115]
	s_delay_alu instid0(VALU_DEP_3) | instskip(NEXT) | instid1(VALU_DEP_3)
	v_fma_f64 v[8:9], v[132:133], s[8:9], v[8:9]
	v_fma_f64 v[53:54], v[10:11], s[16:17], v[4:5]
	v_fma_f64 v[4:5], v[10:11], s[18:19], v[4:5]
	s_delay_alu instid0(VALU_DEP_3)
	v_fma_f64 v[120:121], v[2:3], s[20:21], v[8:9]
	v_add_f64 v[8:9], v[18:19], v[124:125]
	v_fma_f64 v[116:117], v[2:3], s[20:21], v[116:117]
	v_add_f64 v[2:3], v[124:125], v[130:131]
	v_fma_f64 v[53:54], v[49:50], s[8:9], v[53:54]
	v_fma_f64 v[4:5], v[49:50], s[14:15], v[4:5]
	v_add_f64 v[8:9], v[8:9], v[12:13]
	v_add_f64 v[12:13], v[12:13], -v[124:125]
	v_fma_f64 v[2:3], v[2:3], -0.5, v[18:19]
	v_fma_f64 v[114:115], v[0:1], s[20:21], v[53:54]
	v_fma_f64 v[118:119], v[0:1], s[20:21], v[4:5]
	v_add_f64 v[4:5], v[16:17], v[122:123]
	v_add_f64 v[0:1], v[122:123], v[128:129]
	;; [unrolled: 1-line block ×3, first 2 shown]
	v_add_f64 v[53:54], v[126:127], -v[122:123]
	s_delay_alu instid0(VALU_DEP_4) | instskip(NEXT) | instid1(VALU_DEP_4)
	v_add_f64 v[4:5], v[4:5], v[126:127]
	v_fma_f64 v[0:1], v[0:1], -0.5, v[16:17]
	s_delay_alu instid0(VALU_DEP_4) | instskip(NEXT) | instid1(VALU_DEP_3)
	v_add_f64 v[18:19], v[8:9], v[130:131]
	v_add_f64 v[4:5], v[4:5], v[6:7]
	v_add_f64 v[6:7], v[6:7], -v[128:129]
	s_delay_alu instid0(VALU_DEP_4) | instskip(SKIP_1) | instid1(VALU_DEP_4)
	v_fma_f64 v[8:9], v[49:50], s[18:19], v[0:1]
	v_fma_f64 v[0:1], v[49:50], s[16:17], v[0:1]
	v_add_f64 v[16:17], v[4:5], v[128:129]
	v_add_f64 v[4:5], v[14:15], -v[130:131]
	v_fma_f64 v[14:15], v[132:133], s[16:17], v[2:3]
	v_fma_f64 v[2:3], v[132:133], s[18:19], v[2:3]
	v_add_f64 v[6:7], v[53:54], v[6:7]
	v_fma_f64 v[8:9], v[10:11], s[8:9], v[8:9]
	v_fma_f64 v[0:1], v[10:11], s[14:15], v[0:1]
	v_add_f64 v[4:5], v[12:13], v[4:5]
	v_fma_f64 v[10:11], v[57:58], s[14:15], v[14:15]
	v_fma_f64 v[2:3], v[57:58], s[8:9], v[2:3]
	;; [unrolled: 1-line block ×4, first 2 shown]
	v_lshlrev_b32_e32 v0, 4, v55
	ds_store_b128 v201, v[86:89] offset:12320
	ds_store_b128 v0, v[78:81] offset:13200
	;; [unrolled: 1-line block ×5, first 2 shown]
	scratch_store_b32 off, v0, off offset:912 ; 4-byte Folded Spill
	ds_store_b128 v0, v[102:105] offset:16720
	v_and_b32_e32 v0, 0xffff, v134
	s_delay_alu instid0(VALU_DEP_1) | instskip(SKIP_3) | instid1(VALU_DEP_1)
	v_lshlrev_b32_e32 v0, 4, v0
	v_fma_f64 v[124:125], v[4:5], s[20:21], v[10:11]
	v_fma_f64 v[128:129], v[4:5], s[20:21], v[2:3]
	v_add_co_u32 v2, s0, s2, v20
	v_add_co_ci_u32_e64 v3, null, s3, 0, s0
	ds_store_b128 v0, v[16:19] offset:17600
	ds_store_b128 v0, v[114:117] offset:18480
	;; [unrolled: 1-line block ×4, first 2 shown]
	scratch_store_b32 off, v0, off offset:908 ; 4-byte Folded Spill
	ds_store_b128 v0, v[118:121] offset:21120
	v_add_co_u32 v0, s0, 0x1000, v2
	s_delay_alu instid0(VALU_DEP_1)
	v_add_co_ci_u32_e64 v1, s0, 0, v3, s0
	s_waitcnt lgkmcnt(0)
	s_waitcnt_vscnt null, 0x0
	s_barrier
	buffer_gl0_inv
	global_load_b128 v[4:7], v[0:1], off offset:128
	v_add_co_u32 v20, s0, 0x1080, v2
	s_delay_alu instid0(VALU_DEP_1)
	v_add_co_ci_u32_e64 v21, s0, 0, v3, s0
	ds_load_b128 v[16:19], v200 offset:4400
	ds_load_b128 v[92:95], v200 offset:3520
	global_load_b128 v[24:27], v[20:21], off offset:48
	s_waitcnt vmcnt(1)
	scratch_store_b128 off, v[4:7], off offset:700 ; 16-byte Folded Spill
	s_clause 0x1
	global_load_b128 v[84:87], v[20:21], off offset:16
	global_load_b128 v[80:83], v[20:21], off offset:32
	s_waitcnt lgkmcnt(1)
	v_mul_f64 v[0:1], v[18:19], v[6:7]
	v_mul_f64 v[2:3], v[16:17], v[6:7]
	s_delay_alu instid0(VALU_DEP_2) | instskip(NEXT) | instid1(VALU_DEP_2)
	v_fma_f64 v[0:1], v[16:17], v[4:5], -v[0:1]
	v_fma_f64 v[2:3], v[18:19], v[4:5], v[2:3]
	ds_load_b128 v[16:19], v200 offset:8800
	ds_load_b128 v[20:23], v200 offset:9680
	s_waitcnt vmcnt(1) lgkmcnt(1)
	v_mul_f64 v[4:5], v[18:19], v[86:87]
	v_mul_f64 v[6:7], v[16:17], v[86:87]
	s_delay_alu instid0(VALU_DEP_2) | instskip(NEXT) | instid1(VALU_DEP_2)
	v_fma_f64 v[4:5], v[16:17], v[84:85], -v[4:5]
	v_fma_f64 v[6:7], v[18:19], v[84:85], v[6:7]
	ds_load_b128 v[16:19], v200 offset:13200
	ds_load_b128 v[88:91], v200 offset:12320
	s_waitcnt vmcnt(0) lgkmcnt(1)
	v_mul_f64 v[8:9], v[18:19], v[82:83]
	v_mul_f64 v[10:11], v[16:17], v[82:83]
	s_delay_alu instid0(VALU_DEP_2) | instskip(NEXT) | instid1(VALU_DEP_2)
	v_fma_f64 v[8:9], v[16:17], v[80:81], -v[8:9]
	v_fma_f64 v[10:11], v[18:19], v[80:81], v[10:11]
	ds_load_b128 v[16:19], v200 offset:17600
	ds_load_b128 v[36:39], v200 offset:18480
	ds_load_b128 v[40:43], v200 offset:6160
	s_waitcnt lgkmcnt(2)
	v_mul_f64 v[12:13], v[18:19], v[26:27]
	v_mul_f64 v[14:15], v[16:17], v[26:27]
	v_add_f64 v[118:119], v[4:5], -v[8:9]
	v_add_f64 v[114:115], v[6:7], -v[10:11]
	s_delay_alu instid0(VALU_DEP_4) | instskip(SKIP_2) | instid1(VALU_DEP_2)
	v_fma_f64 v[12:13], v[16:17], v[24:25], -v[12:13]
	v_lshlrev_b32_e32 v16, 6, v60
	v_fma_f64 v[14:15], v[18:19], v[24:25], v[14:15]
	v_add_co_u32 v18, s0, s2, v16
	s_delay_alu instid0(VALU_DEP_1) | instskip(NEXT) | instid1(VALU_DEP_2)
	v_add_co_ci_u32_e64 v19, null, s3, 0, s0
	v_add_co_u32 v16, s0, 0x1000, v18
	s_delay_alu instid0(VALU_DEP_1) | instskip(SKIP_1) | instid1(VALU_DEP_1)
	v_add_co_ci_u32_e64 v17, s0, 0, v19, s0
	v_add_co_u32 v18, s0, 0x1080, v18
	v_add_co_ci_u32_e64 v19, s0, 0, v19, s0
	s_clause 0x1
	global_load_b128 v[28:31], v[16:17], off offset:128
	global_load_b128 v[32:35], v[18:19], off offset:48
	scratch_store_b128 off, v[24:27], off offset:736 ; 16-byte Folded Spill
	ds_load_b128 v[24:27], v200 offset:5280
	v_add_f64 v[116:117], v[0:1], -v[12:13]
	v_add_f64 v[112:113], v[2:3], -v[14:15]
	s_waitcnt vmcnt(1) lgkmcnt(0)
	v_mul_f64 v[16:17], v[26:27], v[30:31]
	scratch_store_b128 off, v[28:31], off offset:1156 ; 16-byte Folded Spill
	v_fma_f64 v[16:17], v[24:25], v[28:29], -v[16:17]
	v_mul_f64 v[24:25], v[24:25], v[30:31]
	s_waitcnt vmcnt(0)
	v_mul_f64 v[30:31], v[36:37], v[34:35]
	s_delay_alu instid0(VALU_DEP_2)
	v_fma_f64 v[24:25], v[26:27], v[28:29], v[24:25]
	s_clause 0x1
	global_load_b128 v[26:29], v[18:19], off offset:16
	global_load_b128 v[44:47], v[18:19], off offset:32
	v_fma_f64 v[30:31], v[38:39], v[32:33], v[30:31]
	s_waitcnt vmcnt(1)
	v_mul_f64 v[18:19], v[22:23], v[28:29]
	scratch_store_b128 off, v[26:29], off offset:1172 ; 16-byte Folded Spill
	v_fma_f64 v[18:19], v[20:21], v[26:27], -v[18:19]
	v_mul_f64 v[20:21], v[20:21], v[28:29]
	s_delay_alu instid0(VALU_DEP_1)
	v_fma_f64 v[26:27], v[22:23], v[26:27], v[20:21]
	ds_load_b128 v[20:23], v200 offset:14080
	ds_load_b128 v[57:60], v200 offset:14960
	s_waitcnt vmcnt(0)
	s_clause 0x1
	scratch_store_b128 off, v[44:47], off offset:1140
	scratch_store_b128 off, v[32:35], off offset:1108
	s_waitcnt lgkmcnt(1)
	v_mul_f64 v[28:29], v[22:23], v[46:47]
	s_delay_alu instid0(VALU_DEP_1) | instskip(SKIP_1) | instid1(VALU_DEP_1)
	v_fma_f64 v[28:29], v[20:21], v[44:45], -v[28:29]
	v_mul_f64 v[20:21], v[20:21], v[46:47]
	v_fma_f64 v[20:21], v[22:23], v[44:45], v[20:21]
	v_mul_f64 v[22:23], v[38:39], v[34:35]
	s_delay_alu instid0(VALU_DEP_1) | instskip(SKIP_1) | instid1(VALU_DEP_1)
	v_fma_f64 v[22:23], v[36:37], v[32:33], -v[22:23]
	v_lshlrev_b32_e32 v32, 6, v56
	v_add_co_u32 v34, s0, s2, v32
	s_delay_alu instid0(VALU_DEP_1) | instskip(NEXT) | instid1(VALU_DEP_2)
	v_add_co_ci_u32_e64 v35, null, s3, 0, s0
	v_add_co_u32 v32, s0, 0x1000, v34
	s_delay_alu instid0(VALU_DEP_1) | instskip(SKIP_1) | instid1(VALU_DEP_1)
	v_add_co_ci_u32_e64 v33, s0, 0, v35, s0
	v_add_co_u32 v34, s0, 0x1080, v34
	v_add_co_ci_u32_e64 v35, s0, 0, v35, s0
	s_clause 0x1
	global_load_b128 v[48:51], v[32:33], off offset:128
	global_load_b128 v[44:47], v[34:35], off offset:48
	s_waitcnt vmcnt(1)
	v_mul_f64 v[32:33], v[42:43], v[50:51]
	v_mul_f64 v[36:37], v[40:41], v[50:51]
	scratch_store_b128 off, v[48:51], off offset:1220 ; 16-byte Folded Spill
	v_fma_f64 v[32:33], v[40:41], v[48:49], -v[32:33]
	v_fma_f64 v[148:149], v[42:43], v[48:49], v[36:37]
	s_clause 0x1
	global_load_b128 v[48:51], v[34:35], off offset:16
	global_load_b128 v[36:39], v[34:35], off offset:32
	ds_load_b128 v[40:43], v200 offset:10560
	ds_load_b128 v[68:71], v200 offset:11440
	s_waitcnt vmcnt(1) lgkmcnt(1)
	v_mul_f64 v[34:35], v[42:43], v[50:51]
	scratch_store_b128 off, v[48:51], off offset:1236 ; 16-byte Folded Spill
	s_waitcnt vmcnt(0)
	scratch_store_b128 off, v[36:39], off offset:1188 ; 16-byte Folded Spill
	v_fma_f64 v[34:35], v[40:41], v[48:49], -v[34:35]
	v_mul_f64 v[40:41], v[40:41], v[50:51]
	s_delay_alu instid0(VALU_DEP_1) | instskip(SKIP_1) | instid1(VALU_DEP_1)
	v_fma_f64 v[150:151], v[42:43], v[48:49], v[40:41]
	v_mul_f64 v[40:41], v[59:60], v[38:39]
	v_fma_f64 v[152:153], v[57:58], v[36:37], -v[40:41]
	v_mul_f64 v[40:41], v[57:58], v[38:39]
	s_delay_alu instid0(VALU_DEP_1)
	v_fma_f64 v[154:155], v[59:60], v[36:37], v[40:41]
	ds_load_b128 v[40:43], v200 offset:19360
	ds_load_b128 v[72:75], v200 offset:20240
	v_lshlrev_b32_e32 v36, 6, v52
	ds_load_b128 v[76:79], v200 offset:7920
	scratch_store_b128 off, v[44:47], off offset:1124 ; 16-byte Folded Spill
	v_add_co_u32 v36, s0, s2, v36
	s_delay_alu instid0(VALU_DEP_1) | instskip(SKIP_2) | instid1(VALU_DEP_1)
	v_add_co_ci_u32_e64 v37, null, s3, 0, s0
	s_waitcnt lgkmcnt(2)
	v_mul_f64 v[53:54], v[42:43], v[46:47]
	v_fma_f64 v[156:157], v[40:41], v[44:45], -v[53:54]
	v_mul_f64 v[40:41], v[40:41], v[46:47]
	ds_load_b128 v[52:55], v200 offset:7040
	v_fma_f64 v[158:159], v[42:43], v[44:45], v[40:41]
	v_add_co_u32 v40, s0, 0x1000, v36
	s_delay_alu instid0(VALU_DEP_1) | instskip(SKIP_1) | instid1(VALU_DEP_1)
	v_add_co_ci_u32_e64 v41, s0, 0, v37, s0
	v_add_co_u32 v62, s0, 0x1080, v36
	v_add_co_ci_u32_e64 v63, s0, 0, v37, s0
	s_clause 0x1
	global_load_b128 v[56:59], v[40:41], off offset:128
	global_load_b128 v[36:39], v[62:63], off offset:48
	s_waitcnt vmcnt(1) lgkmcnt(0)
	v_mul_f64 v[64:65], v[54:55], v[58:59]
	s_delay_alu instid0(VALU_DEP_1) | instskip(SKIP_1) | instid1(VALU_DEP_1)
	v_fma_f64 v[176:177], v[52:53], v[56:57], -v[64:65]
	v_mul_f64 v[52:53], v[52:53], v[58:59]
	v_fma_f64 v[178:179], v[54:55], v[56:57], v[52:53]
	s_clause 0x1
	global_load_b128 v[64:67], v[62:63], off offset:16
	global_load_b128 v[52:55], v[62:63], off offset:32
	s_waitcnt vmcnt(1)
	v_mul_f64 v[62:63], v[70:71], v[66:67]
	s_delay_alu instid0(VALU_DEP_1) | instskip(SKIP_1) | instid1(VALU_DEP_1)
	v_fma_f64 v[180:181], v[68:69], v[64:65], -v[62:63]
	v_mul_f64 v[62:63], v[68:69], v[66:67]
	v_fma_f64 v[182:183], v[70:71], v[64:65], v[62:63]
	ds_load_b128 v[68:71], v200 offset:15840
	ds_load_b128 v[96:99], v200 offset:16720
	scratch_store_b128 off, v[36:39], off offset:1204 ; 16-byte Folded Spill
	s_waitcnt vmcnt(0) lgkmcnt(1)
	v_mul_f64 v[62:63], v[70:71], v[54:55]
	s_delay_alu instid0(VALU_DEP_1) | instskip(SKIP_1) | instid1(VALU_DEP_1)
	v_fma_f64 v[184:185], v[68:69], v[52:53], -v[62:63]
	v_mul_f64 v[62:63], v[68:69], v[54:55]
	v_fma_f64 v[186:187], v[70:71], v[52:53], v[62:63]
	v_mul_f64 v[62:63], v[74:75], v[38:39]
	s_delay_alu instid0(VALU_DEP_1) | instskip(SKIP_1) | instid1(VALU_DEP_1)
	v_fma_f64 v[188:189], v[72:73], v[36:37], -v[62:63]
	v_mul_f64 v[62:63], v[72:73], v[38:39]
	v_fma_f64 v[190:191], v[74:75], v[36:37], v[62:63]
	v_lshlrev_b32_e32 v36, 6, v61
	s_delay_alu instid0(VALU_DEP_1) | instskip(NEXT) | instid1(VALU_DEP_1)
	v_add_co_u32 v36, s0, s2, v36
	v_add_co_ci_u32_e64 v37, null, s3, 0, s0
	s_add_u32 s2, s12, 0x55f0
	s_delay_alu instid0(VALU_DEP_2) | instskip(NEXT) | instid1(VALU_DEP_1)
	v_add_co_u32 v60, s0, 0x1000, v36
	v_add_co_ci_u32_e64 v61, s0, 0, v37, s0
	v_add_co_u32 v68, s0, 0x1080, v36
	s_delay_alu instid0(VALU_DEP_1)
	v_add_co_ci_u32_e64 v69, s0, 0, v37, s0
	s_clause 0x1
	global_load_b128 v[72:75], v[60:61], off offset:128
	global_load_b128 v[60:63], v[68:69], off offset:48
	s_addc_u32 s3, s13, 0
	s_waitcnt vmcnt(1)
	v_mul_f64 v[70:71], v[78:79], v[74:75]
	s_delay_alu instid0(VALU_DEP_1) | instskip(SKIP_1) | instid1(VALU_DEP_1)
	v_fma_f64 v[192:193], v[76:77], v[72:73], -v[70:71]
	v_mul_f64 v[70:71], v[76:77], v[74:75]
	v_fma_f64 v[194:195], v[78:79], v[72:73], v[70:71]
	s_clause 0x1
	global_load_b128 v[76:79], v[68:69], off offset:16
	global_load_b128 v[68:71], v[68:69], off offset:32
	s_waitcnt vmcnt(1)
	v_mul_f64 v[100:101], v[90:91], v[78:79]
	s_delay_alu instid0(VALU_DEP_1) | instskip(SKIP_2) | instid1(VALU_DEP_2)
	v_fma_f64 v[196:197], v[88:89], v[76:77], -v[100:101]
	v_mul_f64 v[88:89], v[88:89], v[78:79]
	v_add_f64 v[100:101], v[4:5], v[8:9]
	v_fma_f64 v[198:199], v[90:91], v[76:77], v[88:89]
	s_waitcnt vmcnt(0) lgkmcnt(0)
	v_mul_f64 v[88:89], v[98:99], v[70:71]
	s_delay_alu instid0(VALU_DEP_1) | instskip(SKIP_1) | instid1(VALU_DEP_1)
	v_fma_f64 v[204:205], v[96:97], v[68:69], -v[88:89]
	v_mul_f64 v[88:89], v[96:97], v[70:71]
	v_fma_f64 v[206:207], v[98:99], v[68:69], v[88:89]
	ds_load_b128 v[88:91], v200 offset:21120
	s_waitcnt lgkmcnt(0)
	v_mul_f64 v[96:97], v[90:91], v[62:63]
	s_delay_alu instid0(VALU_DEP_1) | instskip(SKIP_1) | instid1(VALU_DEP_1)
	v_fma_f64 v[208:209], v[88:89], v[60:61], -v[96:97]
	v_mul_f64 v[88:89], v[88:89], v[62:63]
	v_fma_f64 v[210:211], v[90:91], v[60:61], v[88:89]
	v_add_f64 v[88:89], v[0:1], -v[4:5]
	v_add_f64 v[90:91], v[12:13], -v[8:9]
	s_delay_alu instid0(VALU_DEP_1) | instskip(SKIP_2) | instid1(VALU_DEP_1)
	v_add_f64 v[104:105], v[88:89], v[90:91]
	v_add_f64 v[88:89], v[2:3], -v[6:7]
	v_add_f64 v[90:91], v[14:15], -v[10:11]
	v_add_f64 v[106:107], v[88:89], v[90:91]
	ds_load_b128 v[88:91], v200
	ds_load_b128 v[96:99], v200 offset:880
	s_waitcnt lgkmcnt(1)
	v_fma_f64 v[108:109], v[100:101], -0.5, v[88:89]
	v_add_f64 v[100:101], v[6:7], v[10:11]
	s_delay_alu instid0(VALU_DEP_1) | instskip(NEXT) | instid1(VALU_DEP_3)
	v_fma_f64 v[110:111], v[100:101], -0.5, v[90:91]
	v_fma_f64 v[100:101], v[112:113], s[16:17], v[108:109]
	v_fma_f64 v[108:109], v[112:113], s[18:19], v[108:109]
	s_delay_alu instid0(VALU_DEP_3) | instskip(NEXT) | instid1(VALU_DEP_3)
	v_fma_f64 v[102:103], v[116:117], s[18:19], v[110:111]
	v_fma_f64 v[100:101], v[114:115], s[8:9], v[100:101]
	s_delay_alu instid0(VALU_DEP_3) | instskip(SKIP_1) | instid1(VALU_DEP_4)
	v_fma_f64 v[108:109], v[114:115], s[14:15], v[108:109]
	v_fma_f64 v[110:111], v[116:117], s[16:17], v[110:111]
	v_fma_f64 v[102:103], v[118:119], s[14:15], v[102:103]
	s_delay_alu instid0(VALU_DEP_4) | instskip(NEXT) | instid1(VALU_DEP_4)
	v_fma_f64 v[100:101], v[104:105], s[20:21], v[100:101]
	v_fma_f64 v[104:105], v[104:105], s[20:21], v[108:109]
	v_add_f64 v[108:109], v[0:1], v[12:13]
	v_fma_f64 v[110:111], v[118:119], s[8:9], v[110:111]
	v_fma_f64 v[102:103], v[106:107], s[20:21], v[102:103]
	s_delay_alu instid0(VALU_DEP_3) | instskip(SKIP_4) | instid1(VALU_DEP_4)
	v_fma_f64 v[120:121], v[108:109], -0.5, v[88:89]
	v_add_f64 v[108:109], v[2:3], v[14:15]
	v_add_f64 v[88:89], v[88:89], v[0:1]
	v_add_f64 v[0:1], v[4:5], -v[0:1]
	v_fma_f64 v[106:107], v[106:107], s[20:21], v[110:111]
	v_fma_f64 v[122:123], v[108:109], -0.5, v[90:91]
	v_add_f64 v[90:91], v[90:91], v[2:3]
	v_add_f64 v[4:5], v[88:89], v[4:5]
	v_add_f64 v[2:3], v[6:7], -v[2:3]
	s_delay_alu instid0(VALU_DEP_3) | instskip(NEXT) | instid1(VALU_DEP_3)
	v_add_f64 v[88:89], v[90:91], v[6:7]
	v_add_f64 v[4:5], v[4:5], v[8:9]
	v_add_f64 v[8:9], v[8:9], -v[12:13]
	s_delay_alu instid0(VALU_DEP_3) | instskip(NEXT) | instid1(VALU_DEP_3)
	v_add_f64 v[6:7], v[88:89], v[10:11]
	v_add_f64 v[108:109], v[4:5], v[12:13]
	v_add_f64 v[4:5], v[10:11], -v[14:15]
	v_fma_f64 v[10:11], v[114:115], s[16:17], v[120:121]
	v_fma_f64 v[12:13], v[118:119], s[16:17], v[122:123]
	v_add_f64 v[0:1], v[0:1], v[8:9]
	v_add_f64 v[88:89], v[18:19], -v[28:29]
	v_add_f64 v[110:111], v[6:7], v[14:15]
	v_fma_f64 v[6:7], v[114:115], s[18:19], v[120:121]
	v_fma_f64 v[14:15], v[118:119], s[18:19], v[122:123]
	v_add_f64 v[2:3], v[2:3], v[4:5]
	v_fma_f64 v[8:9], v[116:117], s[14:15], v[12:13]
	s_delay_alu instid0(VALU_DEP_4) | instskip(SKIP_2) | instid1(VALU_DEP_4)
	v_fma_f64 v[4:5], v[112:113], s[8:9], v[6:7]
	v_fma_f64 v[6:7], v[112:113], s[14:15], v[10:11]
	;; [unrolled: 1-line block ×4, first 2 shown]
	v_add_f64 v[8:9], v[24:25], -v[30:31]
	v_add_f64 v[14:15], v[16:17], -v[22:23]
	v_fma_f64 v[112:113], v[0:1], s[20:21], v[4:5]
	v_fma_f64 v[116:117], v[0:1], s[20:21], v[6:7]
	;; [unrolled: 1-line block ×3, first 2 shown]
	v_add_f64 v[0:1], v[16:17], -v[18:19]
	v_add_f64 v[2:3], v[22:23], -v[28:29]
	;; [unrolled: 1-line block ×3, first 2 shown]
	v_add_f64 v[6:7], v[26:27], v[20:21]
	v_add_f64 v[10:11], v[26:27], -v[20:21]
	s_delay_alu instid0(VALU_DEP_4) | instskip(SKIP_2) | instid1(VALU_DEP_4)
	v_add_f64 v[0:1], v[0:1], v[2:3]
	v_add_f64 v[2:3], v[24:25], -v[26:27]
	s_waitcnt lgkmcnt(0)
	v_fma_f64 v[6:7], v[6:7], -0.5, v[98:99]
	s_delay_alu instid0(VALU_DEP_2) | instskip(SKIP_1) | instid1(VALU_DEP_3)
	v_add_f64 v[2:3], v[2:3], v[4:5]
	v_add_f64 v[4:5], v[18:19], v[28:29]
	v_fma_f64 v[90:91], v[14:15], s[18:19], v[6:7]
	v_fma_f64 v[6:7], v[14:15], s[16:17], v[6:7]
	s_delay_alu instid0(VALU_DEP_3) | instskip(NEXT) | instid1(VALU_DEP_3)
	v_fma_f64 v[4:5], v[4:5], -0.5, v[96:97]
	v_fma_f64 v[90:91], v[88:89], s[14:15], v[90:91]
	s_delay_alu instid0(VALU_DEP_3) | instskip(NEXT) | instid1(VALU_DEP_3)
	v_fma_f64 v[6:7], v[88:89], s[8:9], v[6:7]
	v_fma_f64 v[12:13], v[8:9], s[16:17], v[4:5]
	;; [unrolled: 1-line block ×3, first 2 shown]
	s_delay_alu instid0(VALU_DEP_3)
	v_fma_f64 v[126:127], v[2:3], s[20:21], v[6:7]
	v_add_f64 v[6:7], v[98:99], v[24:25]
	v_fma_f64 v[122:123], v[2:3], s[20:21], v[90:91]
	v_add_f64 v[2:3], v[24:25], v[30:31]
	v_fma_f64 v[12:13], v[10:11], s[8:9], v[12:13]
	v_fma_f64 v[4:5], v[10:11], s[14:15], v[4:5]
	v_add_f64 v[6:7], v[6:7], v[26:27]
	s_delay_alu instid0(VALU_DEP_4) | instskip(NEXT) | instid1(VALU_DEP_4)
	v_fma_f64 v[2:3], v[2:3], -0.5, v[98:99]
	v_fma_f64 v[120:121], v[0:1], s[20:21], v[12:13]
	s_delay_alu instid0(VALU_DEP_4)
	v_fma_f64 v[124:125], v[0:1], s[20:21], v[4:5]
	v_add_f64 v[4:5], v[96:97], v[16:17]
	v_add_f64 v[0:1], v[16:17], v[22:23]
	;; [unrolled: 1-line block ×3, first 2 shown]
	v_add_f64 v[12:13], v[18:19], -v[16:17]
	v_add_f64 v[16:17], v[26:27], -v[24:25]
	v_add_f64 v[4:5], v[4:5], v[18:19]
	v_fma_f64 v[0:1], v[0:1], -0.5, v[96:97]
	v_add_f64 v[18:19], v[28:29], -v[22:23]
	v_add_f64 v[130:131], v[6:7], v[30:31]
	s_delay_alu instid0(VALU_DEP_4) | instskip(NEXT) | instid1(VALU_DEP_4)
	v_add_f64 v[4:5], v[4:5], v[28:29]
	v_fma_f64 v[6:7], v[10:11], s[18:19], v[0:1]
	v_fma_f64 v[0:1], v[10:11], s[16:17], v[0:1]
	;; [unrolled: 1-line block ×4, first 2 shown]
	v_add_f64 v[12:13], v[12:13], v[18:19]
	ds_load_b128 v[88:91], v200 offset:1760
	ds_load_b128 v[96:99], v200 offset:2640
	v_add_f64 v[128:129], v[4:5], v[22:23]
	v_add_f64 v[4:5], v[20:21], -v[30:31]
	v_fma_f64 v[0:1], v[8:9], s[14:15], v[0:1]
	v_fma_f64 v[6:7], v[8:9], s[8:9], v[6:7]
	;; [unrolled: 1-line block ×4, first 2 shown]
	v_add_f64 v[14:15], v[32:33], -v[156:157]
	v_add_f64 v[10:11], v[150:151], -v[154:155]
	;; [unrolled: 1-line block ×3, first 2 shown]
	v_add_f64 v[4:5], v[16:17], v[4:5]
	v_fma_f64 v[136:137], v[12:13], s[20:21], v[0:1]
	v_add_f64 v[0:1], v[32:33], -v[34:35]
	v_fma_f64 v[132:133], v[12:13], s[20:21], v[6:7]
	v_add_f64 v[6:7], v[150:151], v[154:155]
	v_add_f64 v[16:17], v[34:35], -v[152:153]
	v_fma_f64 v[138:139], v[4:5], s[20:21], v[2:3]
	v_add_f64 v[2:3], v[156:157], -v[152:153]
	v_fma_f64 v[134:135], v[4:5], s[20:21], v[8:9]
	v_add_f64 v[4:5], v[158:159], -v[154:155]
	s_waitcnt lgkmcnt(1)
	v_fma_f64 v[6:7], v[6:7], -0.5, v[90:91]
	v_add_f64 v[8:9], v[148:149], -v[158:159]
	v_add_f64 v[0:1], v[0:1], v[2:3]
	v_add_f64 v[2:3], v[148:149], -v[150:151]
	s_delay_alu instid0(VALU_DEP_4) | instskip(SKIP_1) | instid1(VALU_DEP_3)
	v_fma_f64 v[18:19], v[14:15], s[18:19], v[6:7]
	v_fma_f64 v[6:7], v[14:15], s[16:17], v[6:7]
	v_add_f64 v[2:3], v[2:3], v[4:5]
	v_add_f64 v[4:5], v[34:35], v[152:153]
	s_delay_alu instid0(VALU_DEP_4) | instskip(NEXT) | instid1(VALU_DEP_4)
	v_fma_f64 v[18:19], v[16:17], s[14:15], v[18:19]
	v_fma_f64 v[6:7], v[16:17], s[8:9], v[6:7]
	s_delay_alu instid0(VALU_DEP_3) | instskip(NEXT) | instid1(VALU_DEP_3)
	v_fma_f64 v[4:5], v[4:5], -0.5, v[88:89]
	v_fma_f64 v[142:143], v[2:3], s[20:21], v[18:19]
	s_delay_alu instid0(VALU_DEP_3)
	v_fma_f64 v[146:147], v[2:3], s[20:21], v[6:7]
	v_add_f64 v[6:7], v[90:91], v[148:149]
	v_add_f64 v[2:3], v[148:149], v[158:159]
	v_add_f64 v[18:19], v[150:151], -v[148:149]
	v_fma_f64 v[12:13], v[8:9], s[16:17], v[4:5]
	v_fma_f64 v[4:5], v[8:9], s[18:19], v[4:5]
	v_add_f64 v[6:7], v[6:7], v[150:151]
	v_fma_f64 v[2:3], v[2:3], -0.5, v[90:91]
	s_delay_alu instid0(VALU_DEP_4) | instskip(NEXT) | instid1(VALU_DEP_4)
	v_fma_f64 v[12:13], v[10:11], s[8:9], v[12:13]
	v_fma_f64 v[4:5], v[10:11], s[14:15], v[4:5]
	s_delay_alu instid0(VALU_DEP_4) | instskip(NEXT) | instid1(VALU_DEP_3)
	v_add_f64 v[6:7], v[6:7], v[154:155]
	v_fma_f64 v[140:141], v[0:1], s[20:21], v[12:13]
	s_delay_alu instid0(VALU_DEP_3) | instskip(SKIP_4) | instid1(VALU_DEP_4)
	v_fma_f64 v[144:145], v[0:1], s[20:21], v[4:5]
	v_add_f64 v[4:5], v[88:89], v[32:33]
	v_add_f64 v[0:1], v[32:33], v[156:157]
	v_add_f64 v[12:13], v[34:35], -v[32:33]
	v_add_f64 v[150:151], v[6:7], v[158:159]
	v_add_f64 v[4:5], v[4:5], v[34:35]
	s_delay_alu instid0(VALU_DEP_4) | instskip(NEXT) | instid1(VALU_DEP_4)
	v_fma_f64 v[0:1], v[0:1], -0.5, v[88:89]
	v_add_f64 v[12:13], v[12:13], v[20:21]
	v_add_f64 v[20:21], v[184:185], -v[188:189]
	s_delay_alu instid0(VALU_DEP_4) | instskip(NEXT) | instid1(VALU_DEP_4)
	v_add_f64 v[4:5], v[4:5], v[152:153]
	v_fma_f64 v[6:7], v[10:11], s[18:19], v[0:1]
	v_fma_f64 v[0:1], v[10:11], s[16:17], v[0:1]
	;; [unrolled: 1-line block ×4, first 2 shown]
	v_add_f64 v[16:17], v[180:181], -v[184:185]
	v_add_f64 v[148:149], v[4:5], v[156:157]
	v_add_f64 v[4:5], v[154:155], -v[158:159]
	v_fma_f64 v[0:1], v[8:9], s[14:15], v[0:1]
	v_fma_f64 v[6:7], v[8:9], s[8:9], v[6:7]
	;; [unrolled: 1-line block ×4, first 2 shown]
	v_add_f64 v[14:15], v[176:177], -v[188:189]
	v_add_f64 v[10:11], v[182:183], -v[186:187]
	v_add_f64 v[4:5], v[18:19], v[4:5]
	v_fma_f64 v[156:157], v[12:13], s[20:21], v[0:1]
	v_add_f64 v[0:1], v[176:177], -v[180:181]
	v_fma_f64 v[152:153], v[12:13], s[20:21], v[6:7]
	v_add_f64 v[6:7], v[182:183], v[186:187]
	v_fma_f64 v[158:159], v[4:5], s[20:21], v[2:3]
	v_add_f64 v[2:3], v[188:189], -v[184:185]
	v_fma_f64 v[154:155], v[4:5], s[20:21], v[8:9]
	v_add_f64 v[4:5], v[190:191], -v[186:187]
	s_waitcnt lgkmcnt(0)
	v_fma_f64 v[6:7], v[6:7], -0.5, v[98:99]
	v_add_f64 v[8:9], v[178:179], -v[190:191]
	v_add_f64 v[0:1], v[0:1], v[2:3]
	v_add_f64 v[2:3], v[178:179], -v[182:183]
	s_delay_alu instid0(VALU_DEP_4) | instskip(SKIP_1) | instid1(VALU_DEP_3)
	v_fma_f64 v[18:19], v[14:15], s[18:19], v[6:7]
	v_fma_f64 v[6:7], v[14:15], s[16:17], v[6:7]
	v_add_f64 v[2:3], v[2:3], v[4:5]
	v_add_f64 v[4:5], v[180:181], v[184:185]
	s_delay_alu instid0(VALU_DEP_4) | instskip(NEXT) | instid1(VALU_DEP_4)
	v_fma_f64 v[18:19], v[16:17], s[14:15], v[18:19]
	v_fma_f64 v[6:7], v[16:17], s[8:9], v[6:7]
	s_delay_alu instid0(VALU_DEP_3) | instskip(NEXT) | instid1(VALU_DEP_3)
	v_fma_f64 v[4:5], v[4:5], -0.5, v[96:97]
	v_fma_f64 v[170:171], v[2:3], s[20:21], v[18:19]
	s_delay_alu instid0(VALU_DEP_3)
	v_fma_f64 v[174:175], v[2:3], s[20:21], v[6:7]
	v_add_f64 v[6:7], v[98:99], v[178:179]
	v_add_f64 v[2:3], v[178:179], v[190:191]
	v_add_f64 v[18:19], v[182:183], -v[178:179]
	v_fma_f64 v[12:13], v[8:9], s[16:17], v[4:5]
	v_fma_f64 v[4:5], v[8:9], s[18:19], v[4:5]
	v_add_f64 v[6:7], v[6:7], v[182:183]
	v_fma_f64 v[2:3], v[2:3], -0.5, v[98:99]
	s_delay_alu instid0(VALU_DEP_4) | instskip(NEXT) | instid1(VALU_DEP_4)
	v_fma_f64 v[12:13], v[10:11], s[8:9], v[12:13]
	v_fma_f64 v[4:5], v[10:11], s[14:15], v[4:5]
	s_delay_alu instid0(VALU_DEP_4) | instskip(NEXT) | instid1(VALU_DEP_3)
	v_add_f64 v[6:7], v[6:7], v[186:187]
	v_fma_f64 v[168:169], v[0:1], s[20:21], v[12:13]
	s_delay_alu instid0(VALU_DEP_3) | instskip(SKIP_4) | instid1(VALU_DEP_4)
	v_fma_f64 v[172:173], v[0:1], s[20:21], v[4:5]
	v_add_f64 v[4:5], v[96:97], v[176:177]
	v_add_f64 v[0:1], v[176:177], v[188:189]
	v_add_f64 v[12:13], v[180:181], -v[176:177]
	v_add_f64 v[178:179], v[6:7], v[190:191]
	v_add_f64 v[4:5], v[4:5], v[180:181]
	s_delay_alu instid0(VALU_DEP_4) | instskip(NEXT) | instid1(VALU_DEP_4)
	v_fma_f64 v[0:1], v[0:1], -0.5, v[96:97]
	v_add_f64 v[12:13], v[12:13], v[20:21]
	v_add_f64 v[20:21], v[208:209], -v[204:205]
	s_delay_alu instid0(VALU_DEP_4) | instskip(NEXT) | instid1(VALU_DEP_4)
	v_add_f64 v[4:5], v[4:5], v[184:185]
	v_fma_f64 v[6:7], v[10:11], s[18:19], v[0:1]
	v_fma_f64 v[0:1], v[10:11], s[16:17], v[0:1]
	;; [unrolled: 1-line block ×4, first 2 shown]
	v_add_f64 v[16:17], v[192:193], -v[208:209]
	v_add_f64 v[176:177], v[4:5], v[188:189]
	v_add_f64 v[4:5], v[186:187], -v[190:191]
	v_fma_f64 v[0:1], v[8:9], s[14:15], v[0:1]
	v_fma_f64 v[6:7], v[8:9], s[8:9], v[6:7]
	;; [unrolled: 1-line block ×4, first 2 shown]
	v_add_f64 v[14:15], v[196:197], -v[204:205]
	v_add_f64 v[10:11], v[194:195], -v[210:211]
	v_add_f64 v[4:5], v[18:19], v[4:5]
	v_fma_f64 v[184:185], v[12:13], s[20:21], v[0:1]
	v_add_f64 v[0:1], v[196:197], -v[192:193]
	v_fma_f64 v[180:181], v[12:13], s[20:21], v[6:7]
	v_add_f64 v[6:7], v[194:195], v[210:211]
	v_fma_f64 v[186:187], v[4:5], s[20:21], v[2:3]
	v_add_f64 v[2:3], v[204:205], -v[208:209]
	v_fma_f64 v[182:183], v[4:5], s[20:21], v[8:9]
	v_add_f64 v[4:5], v[206:207], -v[210:211]
	v_fma_f64 v[6:7], v[6:7], -0.5, v[94:95]
	v_add_f64 v[8:9], v[198:199], -v[206:207]
	v_add_f64 v[0:1], v[0:1], v[2:3]
	v_add_f64 v[2:3], v[198:199], -v[194:195]
	s_delay_alu instid0(VALU_DEP_4) | instskip(SKIP_1) | instid1(VALU_DEP_3)
	v_fma_f64 v[18:19], v[14:15], s[16:17], v[6:7]
	v_fma_f64 v[6:7], v[14:15], s[18:19], v[6:7]
	v_add_f64 v[2:3], v[2:3], v[4:5]
	v_add_f64 v[4:5], v[192:193], v[208:209]
	s_delay_alu instid0(VALU_DEP_4) | instskip(NEXT) | instid1(VALU_DEP_4)
	v_fma_f64 v[18:19], v[16:17], s[14:15], v[18:19]
	v_fma_f64 v[6:7], v[16:17], s[8:9], v[6:7]
	s_delay_alu instid0(VALU_DEP_3) | instskip(NEXT) | instid1(VALU_DEP_3)
	v_fma_f64 v[4:5], v[4:5], -0.5, v[92:93]
	v_fma_f64 v[90:91], v[2:3], s[20:21], v[18:19]
	s_delay_alu instid0(VALU_DEP_3)
	v_fma_f64 v[98:99], v[2:3], s[20:21], v[6:7]
	v_add_f64 v[6:7], v[94:95], v[194:195]
	v_add_f64 v[2:3], v[198:199], v[206:207]
	v_add_f64 v[18:19], v[194:195], -v[198:199]
	v_fma_f64 v[12:13], v[8:9], s[18:19], v[4:5]
	v_fma_f64 v[4:5], v[8:9], s[16:17], v[4:5]
	v_add_f64 v[6:7], v[6:7], v[198:199]
	v_fma_f64 v[2:3], v[2:3], -0.5, v[94:95]
	s_delay_alu instid0(VALU_DEP_4) | instskip(NEXT) | instid1(VALU_DEP_4)
	v_fma_f64 v[12:13], v[10:11], s[8:9], v[12:13]
	v_fma_f64 v[4:5], v[10:11], s[14:15], v[4:5]
	s_delay_alu instid0(VALU_DEP_4) | instskip(NEXT) | instid1(VALU_DEP_3)
	v_add_f64 v[6:7], v[6:7], v[206:207]
	v_fma_f64 v[88:89], v[0:1], s[20:21], v[12:13]
	s_delay_alu instid0(VALU_DEP_3) | instskip(SKIP_4) | instid1(VALU_DEP_4)
	v_fma_f64 v[96:97], v[0:1], s[20:21], v[4:5]
	v_add_f64 v[4:5], v[92:93], v[192:193]
	v_add_f64 v[0:1], v[196:197], v[204:205]
	v_add_f64 v[12:13], v[192:193], -v[196:197]
	v_add_f64 v[190:191], v[6:7], v[210:211]
	v_add_f64 v[4:5], v[4:5], v[196:197]
	s_delay_alu instid0(VALU_DEP_4) | instskip(NEXT) | instid1(VALU_DEP_4)
	v_fma_f64 v[0:1], v[0:1], -0.5, v[92:93]
	v_add_f64 v[12:13], v[12:13], v[20:21]
	s_delay_alu instid0(VALU_DEP_3) | instskip(NEXT) | instid1(VALU_DEP_3)
	v_add_f64 v[4:5], v[4:5], v[204:205]
	v_fma_f64 v[6:7], v[10:11], s[16:17], v[0:1]
	v_fma_f64 v[0:1], v[10:11], s[18:19], v[0:1]
	;; [unrolled: 1-line block ×4, first 2 shown]
	v_add_f64 v[188:189], v[4:5], v[208:209]
	v_add_f64 v[4:5], v[210:211], -v[206:207]
	v_fma_f64 v[0:1], v[8:9], s[14:15], v[0:1]
	v_fma_f64 v[6:7], v[8:9], s[8:9], v[6:7]
	;; [unrolled: 1-line block ×4, first 2 shown]
	v_add_f64 v[4:5], v[18:19], v[4:5]
	v_fma_f64 v[92:93], v[12:13], s[20:21], v[0:1]
	v_fma_f64 v[192:193], v[12:13], s[20:21], v[6:7]
	s_delay_alu instid0(VALU_DEP_3)
	v_fma_f64 v[94:95], v[4:5], s[20:21], v[2:3]
	v_fma_f64 v[194:195], v[4:5], s[20:21], v[8:9]
	ds_store_b128 v200, v[108:111]
	ds_store_b128 v200, v[128:131] offset:880
	ds_store_b128 v200, v[148:151] offset:1760
	;; [unrolled: 1-line block ×24, first 2 shown]
	s_waitcnt lgkmcnt(0)
	s_waitcnt_vscnt null, 0x0
	s_barrier
	buffer_gl0_inv
	s_clause 0x1
	global_load_b128 v[102:105], v200, s[2:3]
	global_load_b128 v[112:115], v200, s[2:3] offset:880
	ds_load_b128 v[106:109], v200
	ds_load_b128 v[116:119], v200 offset:880
	ds_load_b128 v[120:123], v200 offset:2000
	;; [unrolled: 1-line block ×3, first 2 shown]
	v_add_co_u32 v126, s0, s2, v200
	s_delay_alu instid0(VALU_DEP_1)
	v_add_co_ci_u32_e64 v127, null, s3, 0, s0
	ds_load_b128 v[146:149], v200 offset:6000
	ds_load_b128 v[154:157], v200 offset:6880
	;; [unrolled: 1-line block ×13, first 2 shown]
	global_load_b128 v[130:133], v200, s[2:3] offset:2880
	ds_load_b128 v[142:145], v200 offset:4880
	s_waitcnt vmcnt(2) lgkmcnt(17)
	v_mul_f64 v[0:1], v[108:109], v[104:105]
	v_mul_f64 v[2:3], v[106:107], v[104:105]
	s_delay_alu instid0(VALU_DEP_2) | instskip(NEXT) | instid1(VALU_DEP_2)
	v_fma_f64 v[100:101], v[106:107], v[102:103], -v[0:1]
	v_fma_f64 v[102:103], v[108:109], v[102:103], v[2:3]
	global_load_b128 v[106:109], v200, s[2:3] offset:2000
	s_waitcnt vmcnt(0) lgkmcnt(15)
	v_mul_f64 v[0:1], v[122:123], v[108:109]
	v_mul_f64 v[2:3], v[120:121], v[108:109]
	ds_load_b128 v[108:111], v200 offset:4000
	v_fma_f64 v[104:105], v[120:121], v[106:107], -v[0:1]
	v_fma_f64 v[106:107], v[122:123], v[106:107], v[2:3]
	global_load_b128 v[122:125], v200, s[2:3] offset:4000
	v_add_co_u32 v120, s0, 0x1000, v126
	s_delay_alu instid0(VALU_DEP_1)
	v_add_co_ci_u32_e64 v121, s0, 0, v127, s0
	s_clause 0x2
	global_load_b128 v[138:141], v[120:121], off offset:784
	global_load_b128 v[168:171], v[120:121], off offset:3904
	;; [unrolled: 1-line block ×3, first 2 shown]
	s_waitcnt vmcnt(3) lgkmcnt(0)
	v_mul_f64 v[0:1], v[110:111], v[124:125]
	v_mul_f64 v[2:3], v[108:109], v[124:125]
	s_delay_alu instid0(VALU_DEP_2) | instskip(NEXT) | instid1(VALU_DEP_2)
	v_fma_f64 v[108:109], v[108:109], v[122:123], -v[0:1]
	v_fma_f64 v[110:111], v[110:111], v[122:123], v[2:3]
	global_load_b128 v[122:125], v[120:121], off offset:1904
	s_waitcnt vmcnt(0)
	v_mul_f64 v[0:1], v[148:149], v[124:125]
	v_mul_f64 v[2:3], v[146:147], v[124:125]
	s_delay_alu instid0(VALU_DEP_2) | instskip(NEXT) | instid1(VALU_DEP_2)
	v_fma_f64 v[146:147], v[146:147], v[122:123], -v[0:1]
	v_fma_f64 v[148:149], v[148:149], v[122:123], v[2:3]
	v_add_co_u32 v122, s0, 0x2000, v126
	s_delay_alu instid0(VALU_DEP_1) | instskip(SKIP_1) | instid1(VALU_DEP_1)
	v_add_co_ci_u32_e64 v123, s0, 0, v127, s0
	v_add_co_u32 v128, s0, 0x3000, v126
	v_add_co_ci_u32_e64 v129, s0, 0, v127, s0
	s_clause 0x7
	global_load_b128 v[184:187], v[122:123], off offset:1808
	global_load_b128 v[192:195], v[122:123], off offset:2688
	;; [unrolled: 1-line block ×8, first 2 shown]
	v_mul_f64 v[0:1], v[174:175], v[170:171]
	v_mul_f64 v[2:3], v[172:173], v[170:171]
	v_add_co_u32 v124, s0, 0x4000, v126
	s_delay_alu instid0(VALU_DEP_1)
	v_add_co_ci_u32_e64 v125, s0, 0, v127, s0
	s_clause 0x1
	global_load_b128 v[252:255], v[124:125], off offset:496
	global_load_b128 v[12:15], v[124:125], off offset:2496
	v_fma_f64 v[170:171], v[172:173], v[168:169], -v[0:1]
	v_fma_f64 v[172:173], v[174:175], v[168:169], v[2:3]
	s_waitcnt vmcnt(9)
	v_mul_f64 v[0:1], v[190:191], v[186:187]
	v_mul_f64 v[2:3], v[188:189], v[186:187]
	s_delay_alu instid0(VALU_DEP_2) | instskip(NEXT) | instid1(VALU_DEP_2)
	v_fma_f64 v[186:187], v[188:189], v[184:185], -v[0:1]
	v_fma_f64 v[188:189], v[190:191], v[184:185], v[2:3]
	s_waitcnt vmcnt(7)
	v_mul_f64 v[0:1], v[210:211], v[206:207]
	v_mul_f64 v[2:3], v[208:209], v[206:207]
	s_delay_alu instid0(VALU_DEP_2) | instskip(NEXT) | instid1(VALU_DEP_2)
	;; [unrolled: 6-line block ×3, first 2 shown]
	v_fma_f64 v[230:231], v[232:233], v[228:229], -v[0:1]
	v_fma_f64 v[232:233], v[234:235], v[228:229], v[2:3]
	ds_load_b128 v[0:3], v200 offset:16880
	s_waitcnt vmcnt(3)
	v_mul_f64 v[4:5], v[250:251], v[246:247]
	v_mul_f64 v[6:7], v[248:249], v[246:247]
	s_delay_alu instid0(VALU_DEP_2) | instskip(NEXT) | instid1(VALU_DEP_2)
	v_fma_f64 v[246:247], v[248:249], v[244:245], -v[4:5]
	v_fma_f64 v[248:249], v[250:251], v[244:245], v[6:7]
	global_load_b128 v[4:7], v[124:125], off offset:1616
	s_waitcnt vmcnt(0)
	v_mul_f64 v[20:21], v[10:11], v[6:7]
	v_mul_f64 v[22:23], v[8:9], v[6:7]
	s_delay_alu instid0(VALU_DEP_2) | instskip(NEXT) | instid1(VALU_DEP_2)
	v_fma_f64 v[6:7], v[8:9], v[4:5], -v[20:21]
	v_fma_f64 v[8:9], v[10:11], v[4:5], v[22:23]
	v_add_co_u32 v4, s0, 0x5000, v126
	s_delay_alu instid0(VALU_DEP_1)
	v_add_co_ci_u32_e64 v5, s0, 0, v127, s0
	s_clause 0x1
	global_load_b128 v[20:23], v[4:5], off offset:400
	global_load_b128 v[24:27], v[124:125], off offset:3616
	ds_load_b128 v[28:31], v200 offset:20000
	ds_load_b128 v[32:35], v200 offset:20880
	s_waitcnt vmcnt(0) lgkmcnt(1)
	v_mul_f64 v[4:5], v[30:31], v[26:27]
	v_mul_f64 v[10:11], v[28:29], v[26:27]
	s_delay_alu instid0(VALU_DEP_2) | instskip(SKIP_1) | instid1(VALU_DEP_3)
	v_fma_f64 v[26:27], v[28:29], v[24:25], -v[4:5]
	v_mul_f64 v[4:5], v[118:119], v[114:115]
	v_fma_f64 v[28:29], v[30:31], v[24:25], v[10:11]
	v_mul_f64 v[10:11], v[116:117], v[114:115]
	s_delay_alu instid0(VALU_DEP_3) | instskip(SKIP_1) | instid1(VALU_DEP_3)
	v_fma_f64 v[114:115], v[116:117], v[112:113], -v[4:5]
	v_mul_f64 v[4:5], v[136:137], v[132:133]
	v_fma_f64 v[116:117], v[118:119], v[112:113], v[10:11]
	v_mul_f64 v[10:11], v[134:135], v[132:133]
	s_delay_alu instid0(VALU_DEP_3) | instskip(SKIP_1) | instid1(VALU_DEP_3)
	;; [unrolled: 5-line block ×8, first 2 shown]
	v_fma_f64 v[178:179], v[240:241], v[236:237], -v[4:5]
	v_mul_f64 v[4:5], v[2:3], v[254:255]
	v_fma_f64 v[180:181], v[242:243], v[236:237], v[10:11]
	v_mul_f64 v[10:11], v[0:1], v[254:255]
	s_delay_alu instid0(VALU_DEP_3) | instskip(SKIP_2) | instid1(VALU_DEP_4)
	v_fma_f64 v[0:1], v[0:1], v[252:253], -v[4:5]
	v_mul_f64 v[4:5], v[18:19], v[14:15]
	v_mul_f64 v[14:15], v[16:17], v[14:15]
	v_fma_f64 v[2:3], v[2:3], v[252:253], v[10:11]
	s_delay_alu instid0(VALU_DEP_3) | instskip(SKIP_4) | instid1(VALU_DEP_3)
	v_fma_f64 v[10:11], v[16:17], v[12:13], -v[4:5]
	s_waitcnt lgkmcnt(0)
	v_mul_f64 v[4:5], v[34:35], v[22:23]
	v_mul_f64 v[16:17], v[32:33], v[22:23]
	v_fma_f64 v[12:13], v[18:19], v[12:13], v[14:15]
	v_fma_f64 v[14:15], v[32:33], v[20:21], -v[4:5]
	s_delay_alu instid0(VALU_DEP_3)
	v_fma_f64 v[16:17], v[34:35], v[20:21], v[16:17]
	ds_store_b128 v200, v[100:103]
	ds_store_b128 v200, v[114:117] offset:880
	ds_store_b128 v200, v[104:107] offset:2000
	;; [unrolled: 1-line block ×21, first 2 shown]
	s_and_saveexec_b32 s0, vcc_lo
	s_cbranch_execz .LBB0_9
; %bb.8:
	s_clause 0x8
	global_load_b128 v[0:3], v[126:127], off offset:1760
	global_load_b128 v[4:7], v[126:127], off offset:3760
	;; [unrolled: 1-line block ×9, first 2 shown]
	scratch_load_b32 v36, off, off          ; 4-byte Folded Reload
	s_waitcnt vmcnt(0)
	v_lshl_or_b32 v36, v36, 4, 0x5500
	s_clause 0x1
	global_load_b128 v[100:103], v[124:125], off offset:3376
	global_load_b128 v[104:107], v36, s[2:3]
	ds_load_b128 v[108:111], v200 offset:1760
	ds_load_b128 v[112:115], v200 offset:3760
	;; [unrolled: 1-line block ×11, first 2 shown]
	s_waitcnt lgkmcnt(6)
	v_mul_f64 v[168:169], v[126:127], v[18:19]
	v_mul_f64 v[18:19], v[124:125], v[18:19]
	;; [unrolled: 1-line block ×10, first 2 shown]
	s_waitcnt lgkmcnt(5)
	v_mul_f64 v[170:171], v[130:131], v[22:23]
	v_mul_f64 v[22:23], v[128:129], v[22:23]
	s_waitcnt lgkmcnt(3)
	v_mul_f64 v[172:173], v[138:139], v[30:31]
	v_mul_f64 v[30:31], v[136:137], v[30:31]
	v_fma_f64 v[108:109], v[108:109], v[0:1], -v[152:153]
	v_mul_f64 v[152:153], v[134:135], v[26:27]
	v_mul_f64 v[26:27], v[132:133], v[26:27]
	v_fma_f64 v[110:111], v[110:111], v[0:1], v[2:3]
	v_fma_f64 v[0:1], v[112:113], v[4:5], -v[154:155]
	s_waitcnt lgkmcnt(2)
	v_mul_f64 v[112:113], v[142:143], v[34:35]
	v_mul_f64 v[34:35], v[140:141], v[34:35]
	v_fma_f64 v[2:3], v[114:115], v[4:5], v[6:7]
	v_fma_f64 v[4:5], v[116:117], v[8:9], -v[156:157]
	v_fma_f64 v[6:7], v[118:119], v[8:9], v[10:11]
	v_fma_f64 v[8:9], v[120:121], v[12:13], -v[158:159]
	;; [unrolled: 2-line block ×7, first 2 shown]
	v_fma_f64 v[30:31], v[142:143], v[32:33], v[34:35]
	s_waitcnt vmcnt(1) lgkmcnt(1)
	v_mul_f64 v[114:115], v[146:147], v[102:103]
	v_mul_f64 v[102:103], v[144:145], v[102:103]
	s_waitcnt vmcnt(0) lgkmcnt(0)
	v_mul_f64 v[116:117], v[150:151], v[106:107]
	v_mul_f64 v[106:107], v[148:149], v[106:107]
	s_delay_alu instid0(VALU_DEP_4) | instskip(NEXT) | instid1(VALU_DEP_4)
	v_fma_f64 v[32:33], v[144:145], v[100:101], -v[114:115]
	v_fma_f64 v[34:35], v[146:147], v[100:101], v[102:103]
	s_delay_alu instid0(VALU_DEP_4) | instskip(NEXT) | instid1(VALU_DEP_4)
	v_fma_f64 v[100:101], v[148:149], v[104:105], -v[116:117]
	v_fma_f64 v[102:103], v[150:151], v[104:105], v[106:107]
	ds_store_b128 v200, v[108:111] offset:1760
	ds_store_b128 v200, v[0:3] offset:3760
	;; [unrolled: 1-line block ×11, first 2 shown]
.LBB0_9:
	s_or_b32 exec_lo, exec_lo, s0
	s_waitcnt lgkmcnt(0)
	s_barrier
	buffer_gl0_inv
	ds_load_b128 v[104:107], v200
	ds_load_b128 v[100:103], v200 offset:880
	ds_load_b128 v[148:151], v200 offset:2000
	;; [unrolled: 1-line block ×21, first 2 shown]
	s_and_saveexec_b32 s0, vcc_lo
	s_cbranch_execz .LBB0_11
; %bb.10:
	ds_load_b128 v[88:91], v200 offset:1760
	ds_load_b128 v[96:99], v200 offset:3760
	;; [unrolled: 1-line block ×4, first 2 shown]
	s_waitcnt lgkmcnt(0)
	scratch_store_b128 off, v[0:3], off offset:52 ; 16-byte Folded Spill
	ds_load_b128 v[0:3], v200 offset:9760
	s_waitcnt lgkmcnt(0)
	scratch_store_b128 off, v[0:3], off offset:68 ; 16-byte Folded Spill
	ds_load_b128 v[0:3], v200 offset:11760
	;; [unrolled: 3-line block ×7, first 2 shown]
	s_waitcnt lgkmcnt(0)
	scratch_store_b128 off, v[0:3], off offset:4 ; 16-byte Folded Spill
.LBB0_11:
	s_or_b32 exec_lo, exec_lo, s0
	s_waitcnt lgkmcnt(19)
	v_add_f64 v[196:197], v[104:105], v[148:149]
	v_add_f64 v[198:199], v[106:107], v[150:151]
	s_waitcnt lgkmcnt(18)
	v_add_f64 v[0:1], v[100:101], v[108:109]
	v_add_f64 v[2:3], v[102:103], v[110:111]
	s_waitcnt lgkmcnt(1)
	v_add_f64 v[8:9], v[150:151], -v[122:123]
	s_mov_b32 s28, 0xf8bb580b
	s_mov_b32 s36, 0x8eee2c13
	;; [unrolled: 1-line block ×10, first 2 shown]
	v_add_f64 v[10:11], v[148:149], v[120:121]
	v_add_f64 v[12:13], v[150:151], v[122:123]
	s_mov_b32 s14, 0x8764f0ba
	s_mov_b32 s18, 0xd9c712b6
	;; [unrolled: 1-line block ×10, first 2 shown]
	v_add_f64 v[32:33], v[186:187], v[194:195]
	v_add_f64 v[34:35], v[186:187], -v[194:195]
	v_add_f64 v[14:15], v[148:149], -v[120:121]
	v_add_f64 v[150:151], v[156:157], v[168:169]
	v_add_f64 v[148:149], v[156:157], -v[168:169]
	s_waitcnt lgkmcnt(0)
	v_add_f64 v[24:25], v[108:109], v[112:113]
	v_add_f64 v[26:27], v[110:111], v[114:115]
	v_add_f64 v[28:29], v[108:109], -v[112:113]
	v_add_f64 v[30:31], v[110:111], -v[114:115]
	s_mov_b32 s25, 0x3fe14ced
	s_mov_b32 s27, 0x3fed1bb4
	v_add_f64 v[4:5], v[196:197], v[152:153]
	v_add_f64 v[6:7], v[198:199], v[154:155]
	;; [unrolled: 1-line block ×4, first 2 shown]
	v_mul_f64 v[16:17], v[8:9], s[28:29]
	v_mul_f64 v[18:19], v[8:9], s[36:37]
	;; [unrolled: 1-line block ×5, first 2 shown]
	v_add_f64 v[196:197], v[184:185], v[192:193]
	v_add_f64 v[198:199], v[154:155], -v[146:147]
	s_mov_b32 s24, s28
	s_mov_b32 s26, s36
	;; [unrolled: 1-line block ×8, first 2 shown]
	s_waitcnt_vscnt null, 0x0
	s_barrier
	buffer_gl0_inv
	v_mul_f64 v[226:227], v[26:27], s[18:19]
	v_mul_f64 v[228:229], v[26:27], s[22:23]
	;; [unrolled: 1-line block ×3, first 2 shown]
	v_add_f64 v[4:5], v[4:5], v[172:173]
	v_add_f64 v[6:7], v[6:7], v[174:175]
	;; [unrolled: 1-line block ×4, first 2 shown]
	v_fma_f64 v[234:235], v[28:29], s[26:27], v[226:227]
	v_fma_f64 v[226:227], v[28:29], s[36:37], v[226:227]
	;; [unrolled: 1-line block ×5, first 2 shown]
	v_add_f64 v[4:5], v[4:5], v[176:177]
	v_add_f64 v[6:7], v[6:7], v[178:179]
	v_add_f64 v[0:1], v[0:1], v[128:129]
	v_add_f64 v[2:3], v[2:3], v[130:131]
	v_fma_f64 v[230:231], v[28:29], s[2:3], v[230:231]
	v_add_f64 v[234:235], v[102:103], v[234:235]
	v_add_f64 v[226:227], v[102:103], v[226:227]
	;; [unrolled: 1-line block ×9, first 2 shown]
	v_add_f64 v[184:185], v[184:185], -v[192:193]
	v_add_f64 v[186:187], v[176:177], v[188:189]
	v_add_f64 v[176:177], v[176:177], -v[188:189]
	v_add_f64 v[156:157], v[118:119], v[134:135]
	v_add_f64 v[230:231], v[102:103], v[230:231]
	;; [unrolled: 1-line block ×7, first 2 shown]
	v_add_f64 v[178:179], v[178:179], -v[190:191]
	v_add_f64 v[194:195], v[152:153], -v[144:145]
	v_add_f64 v[4:5], v[4:5], v[188:189]
	v_add_f64 v[6:7], v[6:7], v[190:191]
	;; [unrolled: 1-line block ×6, first 2 shown]
	v_add_f64 v[172:173], v[172:173], -v[180:181]
	v_add_f64 v[174:175], v[174:175], -v[182:183]
	v_add_f64 v[4:5], v[4:5], v[180:181]
	v_add_f64 v[6:7], v[6:7], v[182:183]
	;; [unrolled: 1-line block ×6, first 2 shown]
	v_add_f64 v[154:155], v[158:159], -v[170:171]
	v_add_f64 v[152:153], v[158:159], v[170:171]
	v_add_f64 v[158:159], v[118:119], -v[134:135]
	v_add_f64 v[4:5], v[4:5], v[144:145]
	v_add_f64 v[6:7], v[6:7], v[146:147]
	;; [unrolled: 1-line block ×5, first 2 shown]
	v_add_f64 v[132:133], v[116:117], -v[132:133]
	v_add_f64 v[144:145], v[130:131], -v[142:143]
	v_add_f64 v[142:143], v[130:131], v[142:143]
	v_add_f64 v[130:131], v[128:129], v[140:141]
	v_add_f64 v[128:129], v[128:129], -v[140:141]
	v_add_f64 v[140:141], v[126:127], -v[138:139]
	v_add_f64 v[138:139], v[126:127], v[138:139]
	v_add_f64 v[126:127], v[124:125], v[136:137]
	v_add_f64 v[124:125], v[124:125], -v[136:137]
	v_mul_f64 v[48:49], v[152:153], s[18:19]
	v_add_f64 v[116:117], v[4:5], v[120:121]
	v_add_f64 v[118:119], v[6:7], v[122:123]
	v_fma_f64 v[4:5], v[10:11], s[14:15], v[16:17]
	v_fma_f64 v[6:7], v[10:11], s[14:15], -v[16:17]
	v_fma_f64 v[16:17], v[10:11], s[18:19], v[18:19]
	v_fma_f64 v[18:19], v[10:11], s[18:19], -v[18:19]
	v_add_f64 v[108:109], v[0:1], v[112:113]
	v_add_f64 v[110:111], v[2:3], v[114:115]
	v_fma_f64 v[0:1], v[10:11], s[22:23], v[20:21]
	v_fma_f64 v[2:3], v[10:11], s[22:23], -v[20:21]
	v_fma_f64 v[20:21], v[10:11], s[20:21], v[22:23]
	v_fma_f64 v[22:23], v[10:11], s[20:21], -v[22:23]
	v_fma_f64 v[112:113], v[10:11], s[16:17], v[8:9]
	v_fma_f64 v[8:9], v[10:11], s[16:17], -v[8:9]
	v_mul_f64 v[10:11], v[12:13], s[14:15]
	v_mul_f64 v[114:115], v[12:13], s[18:19]
	;; [unrolled: 1-line block ×7, first 2 shown]
	v_fma_f64 v[50:51], v[148:149], s[36:37], v[48:49]
	v_fma_f64 v[48:49], v[148:149], s[26:27], v[48:49]
	v_add_f64 v[4:5], v[104:105], v[4:5]
	v_add_f64 v[6:7], v[104:105], v[6:7]
	;; [unrolled: 1-line block ×8, first 2 shown]
	v_mul_f64 v[2:3], v[30:31], s[36:37]
	v_fma_f64 v[134:135], v[14:15], s[24:25], v[10:11]
	v_fma_f64 v[136:137], v[14:15], s[26:27], v[114:115]
	;; [unrolled: 1-line block ×10, first 2 shown]
	v_mul_f64 v[20:21], v[30:31], s[8:9]
	v_fma_f64 v[46:47], v[128:129], s[34:35], v[44:45]
	v_add_f64 v[14:15], v[106:107], v[134:135]
	v_add_f64 v[134:135], v[106:107], v[136:137]
	;; [unrolled: 1-line block ×4, first 2 shown]
	v_mul_f64 v[8:9], v[30:31], s[0:1]
	v_mul_f64 v[0:1], v[30:31], s[28:29]
	v_add_f64 v[10:11], v[106:107], v[10:11]
	v_add_f64 v[114:115], v[106:107], v[114:115]
	;; [unrolled: 1-line block ×8, first 2 shown]
	v_mul_f64 v[12:13], v[30:31], s[2:3]
	v_fma_f64 v[30:31], v[24:25], s[18:19], v[2:3]
	v_fma_f64 v[2:3], v[24:25], s[18:19], -v[2:3]
	v_fma_f64 v[224:225], v[24:25], s[16:17], v[20:21]
	v_fma_f64 v[20:21], v[24:25], s[16:17], -v[20:21]
	v_fma_f64 v[212:213], v[24:25], s[22:23], v[8:9]
	v_fma_f64 v[8:9], v[24:25], s[22:23], -v[8:9]
	v_fma_f64 v[22:23], v[24:25], s[14:15], v[0:1]
	v_fma_f64 v[0:1], v[24:25], s[14:15], -v[0:1]
	v_fma_f64 v[214:215], v[24:25], s[20:21], v[12:13]
	v_fma_f64 v[12:13], v[24:25], s[20:21], -v[12:13]
	v_add_f64 v[250:251], v[100:101], v[2:3]
	v_mul_f64 v[24:25], v[26:27], s[14:15]
	v_add_f64 v[36:37], v[100:101], v[20:21]
	v_mul_f64 v[26:27], v[26:27], s[16:17]
	v_add_f64 v[248:249], v[100:101], v[30:31]
	v_add_f64 v[224:225], v[100:101], v[224:225]
	v_add_f64 v[212:213], v[100:101], v[212:213]
	v_add_f64 v[252:253], v[100:101], v[8:9]
	v_mul_f64 v[8:9], v[198:199], s[36:37]
	v_add_f64 v[244:245], v[100:101], v[0:1]
	v_add_f64 v[242:243], v[100:101], v[22:23]
	;; [unrolled: 1-line block ×4, first 2 shown]
	v_mul_f64 v[12:13], v[174:175], s[0:1]
	v_fma_f64 v[232:233], v[28:29], s[24:25], v[24:25]
	v_fma_f64 v[24:25], v[28:29], s[28:29], v[24:25]
	;; [unrolled: 1-line block ×5, first 2 shown]
	v_fma_f64 v[8:9], v[180:181], s[18:19], -v[8:9]
	v_add_f64 v[232:233], v[102:103], v[232:233]
	v_add_f64 v[246:247], v[102:103], v[24:25]
	;; [unrolled: 1-line block ×5, first 2 shown]
	v_mul_f64 v[4:5], v[182:183], s[18:19]
	v_add_f64 v[6:7], v[8:9], v[6:7]
	v_fma_f64 v[8:9], v[188:189], s[22:23], -v[12:13]
	s_delay_alu instid0(VALU_DEP_3) | instskip(SKIP_1) | instid1(VALU_DEP_3)
	v_fma_f64 v[2:3], v[194:195], s[26:27], v[4:5]
	v_fma_f64 v[4:5], v[194:195], s[36:37], v[4:5]
	v_add_f64 v[6:7], v[8:9], v[6:7]
	s_delay_alu instid0(VALU_DEP_3) | instskip(SKIP_1) | instid1(VALU_DEP_4)
	v_add_f64 v[2:3], v[2:3], v[14:15]
	v_fma_f64 v[14:15], v[188:189], s[22:23], v[12:13]
	v_add_f64 v[4:5], v[4:5], v[10:11]
	v_mul_f64 v[12:13], v[198:199], s[2:3]
	s_delay_alu instid0(VALU_DEP_3) | instskip(SKIP_1) | instid1(VALU_DEP_1)
	v_add_f64 v[0:1], v[14:15], v[0:1]
	v_mul_f64 v[14:15], v[190:191], s[22:23]
	v_fma_f64 v[20:21], v[172:173], s[30:31], v[14:15]
	v_fma_f64 v[8:9], v[172:173], s[0:1], v[14:15]
	v_mul_f64 v[14:15], v[182:183], s[20:21]
	s_delay_alu instid0(VALU_DEP_3) | instskip(SKIP_1) | instid1(VALU_DEP_4)
	v_add_f64 v[2:3], v[20:21], v[2:3]
	v_mul_f64 v[20:21], v[178:179], s[2:3]
	v_add_f64 v[4:5], v[8:9], v[4:5]
	s_delay_alu instid0(VALU_DEP_2) | instskip(SKIP_1) | instid1(VALU_DEP_2)
	v_fma_f64 v[22:23], v[186:187], s[20:21], v[20:21]
	v_fma_f64 v[8:9], v[186:187], s[20:21], -v[20:21]
	v_add_f64 v[0:1], v[22:23], v[0:1]
	v_mul_f64 v[22:23], v[192:193], s[20:21]
	s_delay_alu instid0(VALU_DEP_3) | instskip(NEXT) | instid1(VALU_DEP_2)
	v_add_f64 v[6:7], v[8:9], v[6:7]
	v_fma_f64 v[24:25], v[176:177], s[38:39], v[22:23]
	v_fma_f64 v[8:9], v[176:177], s[2:3], v[22:23]
	s_delay_alu instid0(VALU_DEP_2) | instskip(SKIP_1) | instid1(VALU_DEP_3)
	v_add_f64 v[2:3], v[24:25], v[2:3]
	v_mul_f64 v[24:25], v[34:35], s[8:9]
	v_add_f64 v[8:9], v[8:9], v[4:5]
	s_delay_alu instid0(VALU_DEP_2) | instskip(SKIP_1) | instid1(VALU_DEP_2)
	v_fma_f64 v[26:27], v[196:197], s[16:17], v[24:25]
	v_fma_f64 v[4:5], v[196:197], s[16:17], -v[24:25]
	v_add_f64 v[0:1], v[26:27], v[0:1]
	v_mul_f64 v[26:27], v[32:33], s[16:17]
	s_delay_alu instid0(VALU_DEP_3) | instskip(NEXT) | instid1(VALU_DEP_2)
	v_add_f64 v[4:5], v[4:5], v[6:7]
	v_fma_f64 v[10:11], v[184:185], s[8:9], v[26:27]
	v_fma_f64 v[28:29], v[184:185], s[34:35], v[26:27]
	s_delay_alu instid0(VALU_DEP_2)
	v_add_f64 v[6:7], v[10:11], v[8:9]
	v_fma_f64 v[8:9], v[180:181], s[20:21], v[12:13]
	v_fma_f64 v[10:11], v[194:195], s[38:39], v[14:15]
	v_fma_f64 v[12:13], v[180:181], s[20:21], -v[12:13]
	v_fma_f64 v[14:15], v[194:195], s[2:3], v[14:15]
	v_add_f64 v[2:3], v[28:29], v[2:3]
	v_add_f64 v[8:9], v[8:9], v[16:17]
	v_mul_f64 v[16:17], v[174:175], s[34:35]
	v_add_f64 v[10:11], v[10:11], v[134:135]
	v_add_f64 v[12:13], v[12:13], v[18:19]
	;; [unrolled: 1-line block ×3, first 2 shown]
	s_delay_alu instid0(VALU_DEP_4) | instskip(SKIP_1) | instid1(VALU_DEP_2)
	v_fma_f64 v[20:21], v[188:189], s[16:17], v[16:17]
	v_fma_f64 v[16:17], v[188:189], s[16:17], -v[16:17]
	v_add_f64 v[8:9], v[20:21], v[8:9]
	v_mul_f64 v[20:21], v[190:191], s[16:17]
	s_delay_alu instid0(VALU_DEP_3) | instskip(NEXT) | instid1(VALU_DEP_2)
	v_add_f64 v[12:13], v[16:17], v[12:13]
	v_fma_f64 v[22:23], v[172:173], s[8:9], v[20:21]
	v_fma_f64 v[16:17], v[172:173], s[34:35], v[20:21]
	v_mul_f64 v[20:21], v[198:199], s[34:35]
	s_delay_alu instid0(VALU_DEP_3) | instskip(SKIP_1) | instid1(VALU_DEP_4)
	v_add_f64 v[10:11], v[22:23], v[10:11]
	v_mul_f64 v[22:23], v[178:179], s[30:31]
	v_add_f64 v[14:15], v[16:17], v[14:15]
	s_delay_alu instid0(VALU_DEP_2) | instskip(SKIP_2) | instid1(VALU_DEP_3)
	v_fma_f64 v[24:25], v[186:187], s[22:23], v[22:23]
	v_fma_f64 v[16:17], v[186:187], s[22:23], -v[22:23]
	v_mul_f64 v[22:23], v[182:183], s[16:17]
	v_add_f64 v[8:9], v[24:25], v[8:9]
	v_mul_f64 v[24:25], v[192:193], s[22:23]
	s_delay_alu instid0(VALU_DEP_4) | instskip(NEXT) | instid1(VALU_DEP_2)
	v_add_f64 v[12:13], v[16:17], v[12:13]
	v_fma_f64 v[26:27], v[176:177], s[0:1], v[24:25]
	v_fma_f64 v[16:17], v[176:177], s[30:31], v[24:25]
	v_mul_f64 v[24:25], v[174:175], s[26:27]
	s_delay_alu instid0(VALU_DEP_3) | instskip(SKIP_1) | instid1(VALU_DEP_4)
	v_add_f64 v[10:11], v[26:27], v[10:11]
	v_mul_f64 v[26:27], v[34:35], s[24:25]
	v_add_f64 v[14:15], v[16:17], v[14:15]
	s_delay_alu instid0(VALU_DEP_2) | instskip(SKIP_3) | instid1(VALU_DEP_4)
	v_fma_f64 v[28:29], v[196:197], s[14:15], v[26:27]
	v_fma_f64 v[16:17], v[196:197], s[14:15], -v[26:27]
	v_fma_f64 v[26:27], v[188:189], s[18:19], v[24:25]
	v_fma_f64 v[24:25], v[188:189], s[18:19], -v[24:25]
	v_add_f64 v[8:9], v[28:29], v[8:9]
	v_mul_f64 v[28:29], v[32:33], s[14:15]
	v_add_f64 v[12:13], v[16:17], v[12:13]
	v_fma_f64 v[16:17], v[180:181], s[16:17], v[20:21]
	v_fma_f64 v[20:21], v[180:181], s[16:17], -v[20:21]
	s_delay_alu instid0(VALU_DEP_4) | instskip(SKIP_1) | instid1(VALU_DEP_4)
	v_fma_f64 v[18:19], v[184:185], s[24:25], v[28:29]
	v_fma_f64 v[30:31], v[184:185], s[28:29], v[28:29]
	v_add_f64 v[16:17], v[16:17], v[136:137]
	s_delay_alu instid0(VALU_DEP_4)
	v_add_f64 v[20:21], v[20:21], v[206:207]
	v_mul_f64 v[206:207], v[156:157], s[16:17]
	v_add_f64 v[14:15], v[18:19], v[14:15]
	v_fma_f64 v[18:19], v[194:195], s[8:9], v[22:23]
	v_add_f64 v[16:17], v[26:27], v[16:17]
	v_mul_f64 v[26:27], v[190:191], s[18:19]
	v_add_f64 v[10:11], v[30:31], v[10:11]
	v_fma_f64 v[22:23], v[194:195], s[34:35], v[22:23]
	v_add_f64 v[20:21], v[24:25], v[20:21]
	v_add_f64 v[18:19], v[18:19], v[168:169]
	v_fma_f64 v[28:29], v[172:173], s[36:37], v[26:27]
	v_fma_f64 v[24:25], v[172:173], s[26:27], v[26:27]
	v_add_f64 v[22:23], v[22:23], v[120:121]
	s_delay_alu instid0(VALU_DEP_3) | instskip(SKIP_1) | instid1(VALU_DEP_3)
	v_add_f64 v[18:19], v[28:29], v[18:19]
	v_mul_f64 v[28:29], v[178:179], s[28:29]
	v_add_f64 v[22:23], v[24:25], v[22:23]
	s_delay_alu instid0(VALU_DEP_2) | instskip(SKIP_2) | instid1(VALU_DEP_3)
	v_fma_f64 v[30:31], v[186:187], s[14:15], v[28:29]
	v_fma_f64 v[24:25], v[186:187], s[14:15], -v[28:29]
	v_mul_f64 v[28:29], v[198:199], s[30:31]
	v_add_f64 v[16:17], v[30:31], v[16:17]
	v_mul_f64 v[30:31], v[192:193], s[14:15]
	s_delay_alu instid0(VALU_DEP_4) | instskip(NEXT) | instid1(VALU_DEP_2)
	v_add_f64 v[20:21], v[24:25], v[20:21]
	v_fma_f64 v[100:101], v[176:177], s[24:25], v[30:31]
	v_fma_f64 v[24:25], v[176:177], s[28:29], v[30:31]
	v_mul_f64 v[30:31], v[182:183], s[22:23]
	s_delay_alu instid0(VALU_DEP_3) | instskip(SKIP_1) | instid1(VALU_DEP_4)
	v_add_f64 v[18:19], v[100:101], v[18:19]
	v_mul_f64 v[100:101], v[34:35], s[2:3]
	v_add_f64 v[22:23], v[24:25], v[22:23]
	s_delay_alu instid0(VALU_DEP_2) | instskip(SKIP_2) | instid1(VALU_DEP_3)
	v_fma_f64 v[102:103], v[196:197], s[20:21], v[100:101]
	v_fma_f64 v[24:25], v[196:197], s[20:21], -v[100:101]
	v_mul_f64 v[100:101], v[174:175], s[28:29]
	v_add_f64 v[16:17], v[102:103], v[16:17]
	v_mul_f64 v[102:103], v[32:33], s[20:21]
	s_delay_alu instid0(VALU_DEP_4) | instskip(SKIP_2) | instid1(VALU_DEP_4)
	v_add_f64 v[20:21], v[24:25], v[20:21]
	v_fma_f64 v[24:25], v[180:181], s[22:23], v[28:29]
	v_fma_f64 v[28:29], v[180:181], s[22:23], -v[28:29]
	v_fma_f64 v[114:115], v[184:185], s[38:39], v[102:103]
	v_fma_f64 v[26:27], v[184:185], s[2:3], v[102:103]
	s_delay_alu instid0(VALU_DEP_4)
	v_add_f64 v[24:25], v[24:25], v[208:209]
	v_fma_f64 v[102:103], v[188:189], s[14:15], v[100:101]
	v_add_f64 v[28:29], v[28:29], v[210:211]
	v_fma_f64 v[100:101], v[188:189], s[14:15], -v[100:101]
	v_mul_f64 v[208:209], v[140:141], s[26:27]
	v_mul_f64 v[210:211], v[138:139], s[18:19]
	v_add_f64 v[18:19], v[114:115], v[18:19]
	v_add_f64 v[22:23], v[26:27], v[22:23]
	v_fma_f64 v[26:27], v[194:195], s[0:1], v[30:31]
	v_add_f64 v[24:25], v[102:103], v[24:25]
	v_mul_f64 v[102:103], v[190:191], s[14:15]
	v_fma_f64 v[30:31], v[194:195], s[30:31], v[30:31]
	v_add_f64 v[28:29], v[100:101], v[28:29]
	v_add_f64 v[26:27], v[26:27], v[170:171]
	v_mul_f64 v[170:171], v[32:33], s[22:23]
	v_fma_f64 v[114:115], v[172:173], s[24:25], v[102:103]
	v_add_f64 v[30:31], v[30:31], v[122:123]
	v_fma_f64 v[100:101], v[172:173], s[28:29], v[102:103]
	s_delay_alu instid0(VALU_DEP_3) | instskip(SKIP_1) | instid1(VALU_DEP_3)
	v_add_f64 v[26:27], v[114:115], v[26:27]
	v_mul_f64 v[114:115], v[178:179], s[8:9]
	v_add_f64 v[30:31], v[100:101], v[30:31]
	s_delay_alu instid0(VALU_DEP_2) | instskip(SKIP_1) | instid1(VALU_DEP_2)
	v_fma_f64 v[120:121], v[186:187], s[16:17], v[114:115]
	v_fma_f64 v[100:101], v[186:187], s[16:17], -v[114:115]
	v_add_f64 v[24:25], v[120:121], v[24:25]
	v_mul_f64 v[120:121], v[192:193], s[16:17]
	s_delay_alu instid0(VALU_DEP_3) | instskip(NEXT) | instid1(VALU_DEP_2)
	v_add_f64 v[28:29], v[100:101], v[28:29]
	v_fma_f64 v[134:135], v[176:177], s[34:35], v[120:121]
	v_fma_f64 v[100:101], v[176:177], s[8:9], v[120:121]
	v_mul_f64 v[120:121], v[174:175], s[2:3]
	v_mul_f64 v[174:175], v[138:139], s[22:23]
	s_delay_alu instid0(VALU_DEP_4) | instskip(SKIP_3) | instid1(VALU_DEP_3)
	v_add_f64 v[26:27], v[134:135], v[26:27]
	v_mul_f64 v[134:135], v[34:35], s[26:27]
	v_add_f64 v[30:31], v[100:101], v[30:31]
	v_fma_f64 v[122:123], v[188:189], s[20:21], v[120:121]
	v_fma_f64 v[136:137], v[196:197], s[18:19], v[134:135]
	v_fma_f64 v[100:101], v[196:197], s[18:19], -v[134:135]
	s_delay_alu instid0(VALU_DEP_2) | instskip(SKIP_1) | instid1(VALU_DEP_3)
	v_add_f64 v[24:25], v[136:137], v[24:25]
	v_mul_f64 v[136:137], v[32:33], s[18:19]
	v_add_f64 v[28:29], v[100:101], v[28:29]
	v_mul_f64 v[100:101], v[198:199], s[24:25]
	v_mul_f64 v[198:199], v[152:153], s[14:15]
	s_delay_alu instid0(VALU_DEP_4) | instskip(SKIP_1) | instid1(VALU_DEP_2)
	v_fma_f64 v[102:103], v[184:185], s[26:27], v[136:137]
	v_fma_f64 v[168:169], v[184:185], s[36:37], v[136:137]
	v_add_f64 v[30:31], v[102:103], v[30:31]
	v_fma_f64 v[102:103], v[180:181], s[14:15], v[100:101]
	s_delay_alu instid0(VALU_DEP_3) | instskip(SKIP_2) | instid1(VALU_DEP_4)
	v_add_f64 v[26:27], v[168:169], v[26:27]
	v_fma_f64 v[100:101], v[180:181], s[14:15], -v[100:101]
	v_mul_f64 v[180:181], v[154:155], s[8:9]
	v_add_f64 v[102:103], v[102:103], v[112:113]
	v_mul_f64 v[112:113], v[182:183], s[14:15]
	s_delay_alu instid0(VALU_DEP_4) | instskip(SKIP_1) | instid1(VALU_DEP_4)
	v_add_f64 v[100:101], v[100:101], v[104:105]
	v_mul_f64 v[182:183], v[152:153], s[16:17]
	v_add_f64 v[102:103], v[122:123], v[102:103]
	s_delay_alu instid0(VALU_DEP_4) | instskip(SKIP_2) | instid1(VALU_DEP_3)
	v_fma_f64 v[114:115], v[194:195], s[28:29], v[112:113]
	v_mul_f64 v[122:123], v[190:191], s[20:21]
	v_mul_f64 v[190:191], v[138:139], s[16:17]
	v_add_f64 v[114:115], v[114:115], v[204:205]
	s_delay_alu instid0(VALU_DEP_3) | instskip(SKIP_1) | instid1(VALU_DEP_2)
	v_fma_f64 v[134:135], v[172:173], s[38:39], v[122:123]
	v_mul_f64 v[204:205], v[158:159], s[34:35]
	v_add_f64 v[114:115], v[134:135], v[114:115]
	v_mul_f64 v[134:135], v[178:179], s[26:27]
	v_mul_f64 v[178:179], v[142:143], s[20:21]
	s_delay_alu instid0(VALU_DEP_2) | instskip(SKIP_3) | instid1(VALU_DEP_4)
	v_fma_f64 v[136:137], v[186:187], s[18:19], v[134:135]
	v_fma_f64 v[104:105], v[186:187], s[18:19], -v[134:135]
	v_mul_f64 v[186:187], v[156:157], s[20:21]
	v_fma_f64 v[134:135], v[126:127], s[18:19], v[208:209]
	v_add_f64 v[102:103], v[136:137], v[102:103]
	v_mul_f64 v[136:137], v[192:193], s[18:19]
	v_mul_f64 v[192:193], v[144:145], s[30:31]
	s_delay_alu instid0(VALU_DEP_2) | instskip(NEXT) | instid1(VALU_DEP_1)
	v_fma_f64 v[168:169], v[176:177], s[36:37], v[136:137]
	v_add_f64 v[114:115], v[168:169], v[114:115]
	v_mul_f64 v[168:169], v[34:35], s[0:1]
	v_fma_f64 v[34:35], v[184:185], s[30:31], v[170:171]
	s_delay_alu instid0(VALU_DEP_2) | instskip(NEXT) | instid1(VALU_DEP_2)
	v_fma_f64 v[32:33], v[196:197], s[22:23], v[168:169]
	v_add_f64 v[34:35], v[34:35], v[114:115]
	v_fma_f64 v[114:115], v[172:173], s[2:3], v[122:123]
	v_mul_f64 v[172:173], v[140:141], s[0:1]
	v_fma_f64 v[122:123], v[132:133], s[8:9], v[206:207]
	v_add_f64 v[32:33], v[32:33], v[102:103]
	v_fma_f64 v[102:103], v[194:195], s[24:25], v[112:113]
	v_fma_f64 v[112:113], v[188:189], s[20:21], -v[120:121]
	v_mul_f64 v[188:189], v[140:141], s[34:35]
	v_mul_f64 v[194:195], v[142:143], s[22:23]
	v_add_f64 v[122:123], v[122:123], v[236:237]
	v_mul_f64 v[236:237], v[152:153], s[20:21]
	v_add_f64 v[102:103], v[102:103], v[106:107]
	v_add_f64 v[100:101], v[112:113], v[100:101]
	v_fma_f64 v[106:107], v[176:177], s[26:27], v[136:137]
	v_fma_f64 v[112:113], v[126:127], s[22:23], v[172:173]
	v_mul_f64 v[176:177], v[144:145], s[2:3]
	v_fma_f64 v[120:121], v[126:127], s[16:17], v[188:189]
	v_add_f64 v[102:103], v[114:115], v[102:103]
	v_add_f64 v[100:101], v[104:105], v[100:101]
	v_fma_f64 v[104:105], v[196:197], s[22:23], -v[168:169]
	v_mul_f64 v[168:169], v[158:159], s[36:37]
	v_fma_f64 v[114:115], v[132:133], s[38:39], v[186:187]
	v_mul_f64 v[196:197], v[154:155], s[24:25]
	v_add_f64 v[102:103], v[106:107], v[102:103]
	v_fma_f64 v[106:107], v[184:185], s[0:1], v[170:171]
	v_add_f64 v[100:101], v[104:105], v[100:101]
	v_fma_f64 v[104:105], v[146:147], s[18:19], v[168:169]
	v_mul_f64 v[170:171], v[156:157], s[18:19]
	v_mul_f64 v[184:185], v[158:159], s[2:3]
	v_add_f64 v[114:115], v[114:115], v[234:235]
	v_mul_f64 v[234:235], v[154:155], s[2:3]
	v_add_f64 v[102:103], v[106:107], v[102:103]
	v_add_f64 v[104:105], v[104:105], v[242:243]
	v_fma_f64 v[106:107], v[132:133], s[26:27], v[170:171]
	v_mul_f64 v[242:243], v[158:159], s[30:31]
	s_delay_alu instid0(VALU_DEP_3) | instskip(NEXT) | instid1(VALU_DEP_3)
	v_add_f64 v[104:105], v[112:113], v[104:105]
	v_add_f64 v[106:107], v[106:107], v[232:233]
	v_fma_f64 v[112:113], v[124:125], s[30:31], v[174:175]
	v_mul_f64 v[232:233], v[142:143], s[14:15]
	v_mul_f64 v[142:143], v[142:143], s[18:19]
	s_delay_alu instid0(VALU_DEP_3) | instskip(SKIP_1) | instid1(VALU_DEP_1)
	v_add_f64 v[106:107], v[112:113], v[106:107]
	v_fma_f64 v[112:113], v[130:131], s[20:21], v[176:177]
	v_add_f64 v[104:105], v[112:113], v[104:105]
	v_fma_f64 v[112:113], v[128:129], s[38:39], v[178:179]
	s_delay_alu instid0(VALU_DEP_1) | instskip(SKIP_1) | instid1(VALU_DEP_1)
	v_add_f64 v[106:107], v[112:113], v[106:107]
	v_fma_f64 v[112:113], v[150:151], s[16:17], v[180:181]
	v_add_f64 v[104:105], v[112:113], v[104:105]
	v_fma_f64 v[112:113], v[148:149], s[34:35], v[182:183]
	s_delay_alu instid0(VALU_DEP_1) | instskip(SKIP_1) | instid1(VALU_DEP_1)
	v_add_f64 v[106:107], v[112:113], v[106:107]
	v_fma_f64 v[112:113], v[146:147], s[20:21], v[184:185]
	v_add_f64 v[112:113], v[112:113], v[248:249]
	s_delay_alu instid0(VALU_DEP_1) | instskip(SKIP_1) | instid1(VALU_DEP_1)
	v_add_f64 v[112:113], v[120:121], v[112:113]
	v_fma_f64 v[120:121], v[124:125], s[8:9], v[190:191]
	v_add_f64 v[114:115], v[120:121], v[114:115]
	v_fma_f64 v[120:121], v[130:131], s[22:23], v[192:193]
	s_delay_alu instid0(VALU_DEP_1) | instskip(SKIP_1) | instid1(VALU_DEP_1)
	v_add_f64 v[112:113], v[120:121], v[112:113]
	v_fma_f64 v[120:121], v[128:129], s[0:1], v[194:195]
	v_add_f64 v[114:115], v[120:121], v[114:115]
	v_fma_f64 v[120:121], v[150:151], s[14:15], v[196:197]
	;; [unrolled: 5-line block ×3, first 2 shown]
	s_delay_alu instid0(VALU_DEP_1) | instskip(SKIP_2) | instid1(VALU_DEP_3)
	v_add_f64 v[120:121], v[120:121], v[212:213]
	v_mul_f64 v[212:213], v[144:145], s[28:29]
	v_mul_f64 v[144:145], v[144:145], s[26:27]
	v_add_f64 v[120:121], v[134:135], v[120:121]
	v_fma_f64 v[134:135], v[124:125], s[36:37], v[210:211]
	s_delay_alu instid0(VALU_DEP_1) | instskip(SKIP_1) | instid1(VALU_DEP_1)
	v_add_f64 v[122:123], v[134:135], v[122:123]
	v_fma_f64 v[134:135], v[130:131], s[14:15], v[212:213]
	v_add_f64 v[120:121], v[134:135], v[120:121]
	v_fma_f64 v[134:135], v[128:129], s[24:25], v[232:233]
	s_delay_alu instid0(VALU_DEP_1) | instskip(SKIP_1) | instid1(VALU_DEP_1)
	v_add_f64 v[122:123], v[134:135], v[122:123]
	v_fma_f64 v[134:135], v[150:151], s[20:21], v[234:235]
	;; [unrolled: 5-line block ×3, first 2 shown]
	v_add_f64 v[134:135], v[134:135], v[214:215]
	v_mul_f64 v[214:215], v[156:157], s[22:23]
	v_mul_f64 v[156:157], v[156:157], s[14:15]
	s_delay_alu instid0(VALU_DEP_2) | instskip(NEXT) | instid1(VALU_DEP_1)
	v_fma_f64 v[136:137], v[132:133], s[0:1], v[214:215]
	v_add_f64 v[136:137], v[136:137], v[238:239]
	v_mul_f64 v[238:239], v[140:141], s[28:29]
	v_mul_f64 v[140:141], v[140:141], s[2:3]
	s_delay_alu instid0(VALU_DEP_2) | instskip(NEXT) | instid1(VALU_DEP_1)
	v_fma_f64 v[248:249], v[126:127], s[14:15], v[238:239]
	;; [unrolled: 5-line block ×3, first 2 shown]
	v_add_f64 v[40:41], v[40:41], v[136:137]
	v_fma_f64 v[136:137], v[130:131], s[16:17], v[42:43]
	v_fma_f64 v[42:43], v[130:131], s[16:17], -v[42:43]
	s_delay_alu instid0(VALU_DEP_3) | instskip(SKIP_1) | instid1(VALU_DEP_4)
	v_add_f64 v[40:41], v[46:47], v[40:41]
	v_mul_f64 v[46:47], v[154:155], s[26:27]
	v_add_f64 v[134:135], v[136:137], v[134:135]
	s_delay_alu instid0(VALU_DEP_2) | instskip(SKIP_1) | instid1(VALU_DEP_2)
	v_fma_f64 v[136:137], v[150:151], s[18:19], v[46:47]
	v_fma_f64 v[46:47], v[150:151], s[18:19], -v[46:47]
	v_add_f64 v[134:135], v[136:137], v[134:135]
	v_add_f64 v[136:137], v[50:51], v[40:41]
	v_mul_f64 v[40:41], v[158:159], s[24:25]
	v_fma_f64 v[158:159], v[132:133], s[28:29], v[156:157]
	s_delay_alu instid0(VALU_DEP_2) | instskip(SKIP_1) | instid1(VALU_DEP_3)
	v_fma_f64 v[50:51], v[146:147], s[14:15], v[40:41]
	v_fma_f64 v[40:41], v[146:147], s[14:15], -v[40:41]
	v_add_f64 v[158:159], v[158:159], v[240:241]
	s_delay_alu instid0(VALU_DEP_3) | instskip(NEXT) | instid1(VALU_DEP_3)
	v_add_f64 v[50:51], v[50:51], v[224:225]
	v_add_f64 v[36:37], v[40:41], v[36:37]
	v_fma_f64 v[40:41], v[132:133], s[24:25], v[156:157]
	v_fma_f64 v[224:225], v[126:127], s[20:21], v[140:141]
	s_delay_alu instid0(VALU_DEP_2) | instskip(SKIP_1) | instid1(VALU_DEP_3)
	v_add_f64 v[38:39], v[40:41], v[38:39]
	v_fma_f64 v[40:41], v[126:127], s[20:21], -v[140:141]
	v_add_f64 v[50:51], v[224:225], v[50:51]
	v_fma_f64 v[224:225], v[124:125], s[38:39], v[138:139]
	v_fma_f64 v[140:141], v[126:127], s[14:15], -v[238:239]
	s_delay_alu instid0(VALU_DEP_4) | instskip(SKIP_4) | instid1(VALU_DEP_4)
	v_add_f64 v[36:37], v[40:41], v[36:37]
	v_fma_f64 v[40:41], v[124:125], s[2:3], v[138:139]
	v_fma_f64 v[138:139], v[132:133], s[30:31], v[214:215]
	v_add_f64 v[158:159], v[224:225], v[158:159]
	v_fma_f64 v[224:225], v[130:131], s[18:19], v[144:145]
	v_add_f64 v[38:39], v[40:41], v[38:39]
	v_fma_f64 v[40:41], v[130:131], s[18:19], -v[144:145]
	v_add_f64 v[138:139], v[138:139], v[230:231]
	s_delay_alu instid0(VALU_DEP_4) | instskip(SKIP_1) | instid1(VALU_DEP_4)
	v_add_f64 v[50:51], v[224:225], v[50:51]
	v_fma_f64 v[224:225], v[128:129], s[36:37], v[142:143]
	v_add_f64 v[36:37], v[40:41], v[36:37]
	v_fma_f64 v[40:41], v[128:129], s[26:27], v[142:143]
	v_fma_f64 v[142:143], v[126:127], s[16:17], -v[188:189]
	s_delay_alu instid0(VALU_DEP_4) | instskip(NEXT) | instid1(VALU_DEP_3)
	v_add_f64 v[158:159], v[224:225], v[158:159]
	v_add_f64 v[38:39], v[40:41], v[38:39]
	v_fma_f64 v[40:41], v[146:147], s[22:23], -v[242:243]
	s_delay_alu instid0(VALU_DEP_1) | instskip(NEXT) | instid1(VALU_DEP_1)
	v_add_f64 v[40:41], v[40:41], v[254:255]
	v_add_f64 v[40:41], v[140:141], v[40:41]
	v_fma_f64 v[140:141], v[124:125], s[28:29], v[248:249]
	s_delay_alu instid0(VALU_DEP_2) | instskip(NEXT) | instid1(VALU_DEP_2)
	v_add_f64 v[40:41], v[42:43], v[40:41]
	v_add_f64 v[138:139], v[140:141], v[138:139]
	v_fma_f64 v[42:43], v[128:129], s[8:9], v[44:45]
	v_fma_f64 v[44:45], v[146:147], s[16:17], -v[204:205]
	v_fma_f64 v[140:141], v[126:127], s[18:19], -v[208:209]
	v_fma_f64 v[126:127], v[126:127], s[22:23], -v[172:173]
	v_fma_f64 v[172:173], v[148:149], s[8:9], v[182:183]
	v_add_f64 v[42:43], v[42:43], v[138:139]
	v_add_f64 v[44:45], v[44:45], v[252:253]
	v_fma_f64 v[138:139], v[132:133], s[34:35], v[206:207]
	s_delay_alu instid0(VALU_DEP_2) | instskip(NEXT) | instid1(VALU_DEP_2)
	v_add_f64 v[44:45], v[140:141], v[44:45]
	v_add_f64 v[138:139], v[138:139], v[228:229]
	v_fma_f64 v[140:141], v[124:125], s[26:27], v[210:211]
	s_delay_alu instid0(VALU_DEP_1) | instskip(SKIP_1) | instid1(VALU_DEP_1)
	v_add_f64 v[138:139], v[140:141], v[138:139]
	v_fma_f64 v[140:141], v[130:131], s[14:15], -v[212:213]
	v_add_f64 v[44:45], v[140:141], v[44:45]
	v_fma_f64 v[140:141], v[128:129], s[28:29], v[232:233]
	s_delay_alu instid0(VALU_DEP_1) | instskip(SKIP_4) | instid1(VALU_DEP_4)
	v_add_f64 v[144:145], v[140:141], v[138:139]
	v_fma_f64 v[138:139], v[146:147], s[20:21], -v[184:185]
	v_fma_f64 v[140:141], v[132:133], s[2:3], v[186:187]
	v_fma_f64 v[132:133], v[132:133], s[36:37], v[170:171]
	;; [unrolled: 1-line block ×3, first 2 shown]
	v_add_f64 v[138:139], v[138:139], v[250:251]
	s_delay_alu instid0(VALU_DEP_4) | instskip(NEXT) | instid1(VALU_DEP_4)
	v_add_f64 v[140:141], v[140:141], v[226:227]
	v_add_f64 v[132:133], v[132:133], v[246:247]
	s_delay_alu instid0(VALU_DEP_3) | instskip(SKIP_4) | instid1(VALU_DEP_4)
	v_add_f64 v[138:139], v[142:143], v[138:139]
	v_fma_f64 v[142:143], v[146:147], s[18:19], -v[168:169]
	v_fma_f64 v[146:147], v[124:125], s[34:35], v[190:191]
	v_fma_f64 v[124:125], v[124:125], s[0:1], v[174:175]
	;; [unrolled: 1-line block ×3, first 2 shown]
	v_add_f64 v[142:143], v[142:143], v[244:245]
	s_delay_alu instid0(VALU_DEP_4)
	v_add_f64 v[140:141], v[146:147], v[140:141]
	v_fma_f64 v[146:147], v[130:131], s[22:23], -v[192:193]
	v_fma_f64 v[130:131], v[130:131], s[20:21], -v[176:177]
	v_add_f64 v[124:125], v[124:125], v[132:133]
	v_add_f64 v[144:145], v[168:169], v[144:145]
	;; [unrolled: 1-line block ×3, first 2 shown]
	v_fma_f64 v[142:143], v[150:151], s[20:21], -v[234:235]
	v_add_f64 v[146:147], v[146:147], v[138:139]
	v_fma_f64 v[138:139], v[128:129], s[30:31], v[194:195]
	v_fma_f64 v[128:129], v[128:129], s[2:3], v[178:179]
	v_add_f64 v[132:133], v[130:131], v[126:127]
	v_mul_f64 v[126:127], v[154:155], s[0:1]
	v_mul_f64 v[130:131], v[152:153], s[22:23]
	v_add_f64 v[156:157], v[138:139], v[140:141]
	v_add_f64 v[152:153], v[128:129], v[124:125]
	v_fma_f64 v[154:155], v[150:151], s[14:15], -v[196:197]
	v_add_f64 v[138:139], v[46:47], v[40:41]
	v_add_f64 v[140:141], v[48:49], v[42:43]
	;; [unrolled: 1-line block ×3, first 2 shown]
	v_fma_f64 v[124:125], v[150:151], s[22:23], v[126:127]
	v_fma_f64 v[128:129], v[150:151], s[22:23], -v[126:127]
	v_fma_f64 v[126:127], v[148:149], s[30:31], v[130:131]
	v_fma_f64 v[130:131], v[148:149], s[0:1], v[130:131]
	v_fma_f64 v[150:151], v[150:151], s[16:17], -v[180:181]
	v_add_f64 v[146:147], v[154:155], v[146:147]
	v_add_f64 v[148:149], v[170:171], v[156:157]
	;; [unrolled: 1-line block ×8, first 2 shown]
	ds_store_b128 v203, v[116:119]
	ds_store_b128 v203, v[0:3] offset:16
	ds_store_b128 v203, v[8:11] offset:32
	;; [unrolled: 1-line block ×10, first 2 shown]
	ds_store_b128 v202, v[108:111]
	ds_store_b128 v202, v[104:107] offset:16
	ds_store_b128 v202, v[112:115] offset:32
	;; [unrolled: 1-line block ×10, first 2 shown]
	s_and_saveexec_b32 s33, vcc_lo
	s_cbranch_execz .LBB0_13
; %bb.12:
	s_clause 0x6
	scratch_load_b128 v[228:231], off, off offset:4
	scratch_load_b128 v[232:235], off, off offset:20
	;; [unrolled: 1-line block ×7, first 2 shown]
	v_add_f64 v[0:1], v[90:91], v[98:99]
	v_add_f64 v[2:3], v[88:89], v[96:97]
	s_delay_alu instid0(VALU_DEP_2) | instskip(NEXT) | instid1(VALU_DEP_2)
	v_add_f64 v[0:1], v[0:1], v[94:95]
	v_add_f64 v[2:3], v[2:3], v[92:93]
	s_waitcnt vmcnt(6)
	v_add_f64 v[4:5], v[96:97], -v[228:229]
	v_add_f64 v[6:7], v[98:99], -v[230:231]
	v_add_f64 v[10:11], v[98:99], v[230:231]
	v_add_f64 v[12:13], v[96:97], v[228:229]
	scratch_load_b128 v[96:99], off, off offset:116 ; 16-byte Folded Reload
	s_waitcnt vmcnt(5)
	v_add_f64 v[0:1], v[0:1], v[126:127]
	v_add_f64 v[2:3], v[2:3], v[124:125]
	v_add_f64 v[8:9], v[92:93], -v[232:233]
	v_add_f64 v[36:37], v[94:95], -v[234:235]
	s_waitcnt vmcnt(2)
	v_add_f64 v[32:33], v[100:101], -v[128:129]
	v_add_f64 v[34:35], v[124:125], -v[138:139]
	;; [unrolled: 1-line block ×3, first 2 shown]
	v_add_f64 v[42:43], v[94:95], v[234:235]
	v_add_f64 v[50:51], v[126:127], -v[140:141]
	v_add_f64 v[120:121], v[126:127], v[140:141]
	v_add_f64 v[92:93], v[92:93], v[232:233]
	;; [unrolled: 1-line block ×3, first 2 shown]
	v_mul_f64 v[14:15], v[4:5], s[8:9]
	v_mul_f64 v[16:17], v[6:7], s[8:9]
	;; [unrolled: 1-line block ×5, first 2 shown]
	v_add_f64 v[0:1], v[0:1], v[102:103]
	v_add_f64 v[2:3], v[2:3], v[100:101]
	v_mul_f64 v[24:25], v[4:5], s[36:37]
	v_mul_f64 v[26:27], v[6:7], s[36:37]
	;; [unrolled: 1-line block ×6, first 2 shown]
	v_add_f64 v[100:101], v[100:101], v[128:129]
	v_mul_f64 v[122:123], v[36:37], s[24:25]
	v_mul_f64 v[126:127], v[36:37], s[30:31]
	;; [unrolled: 1-line block ×14, first 2 shown]
	v_fma_f64 v[104:105], v[12:13], s[16:17], -v[16:17]
	v_fma_f64 v[16:17], v[12:13], s[16:17], v[16:17]
	v_fma_f64 v[106:107], v[10:11], s[20:21], v[18:19]
	v_fma_f64 v[108:109], v[12:13], s[20:21], -v[20:21]
	s_waitcnt vmcnt(1)
	v_add_f64 v[0:1], v[0:1], v[48:49]
	v_add_f64 v[2:3], v[2:3], v[46:47]
	v_fma_f64 v[18:19], v[10:11], s[20:21], -v[18:19]
	v_fma_f64 v[20:21], v[12:13], s[20:21], v[20:21]
	v_fma_f64 v[110:111], v[10:11], s[22:23], v[22:23]
	v_fma_f64 v[22:23], v[10:11], s[22:23], -v[22:23]
	v_fma_f64 v[112:113], v[10:11], s[18:19], -v[24:25]
	v_fma_f64 v[114:115], v[12:13], s[18:19], v[26:27]
	v_fma_f64 v[116:117], v[12:13], s[22:23], v[28:29]
	v_fma_f64 v[28:29], v[12:13], s[22:23], -v[28:29]
	v_fma_f64 v[24:25], v[10:11], s[18:19], v[24:25]
	v_fma_f64 v[26:27], v[12:13], s[18:19], -v[26:27]
	;; [unrolled: 2-line block ×7, first 2 shown]
	v_fma_f64 v[178:179], v[124:125], s[14:15], -v[170:171]
	v_fma_f64 v[170:171], v[124:125], s[14:15], v[170:171]
	v_fma_f64 v[180:181], v[124:125], s[18:19], -v[172:173]
	v_fma_f64 v[172:173], v[124:125], s[18:19], v[172:173]
	v_fma_f64 v[182:183], v[124:125], s[16:17], -v[174:175]
	v_fma_f64 v[174:175], v[124:125], s[16:17], v[174:175]
	v_fma_f64 v[212:213], v[100:101], s[16:17], -v[204:205]
	v_fma_f64 v[204:205], v[100:101], s[16:17], v[204:205]
	v_fma_f64 v[214:215], v[100:101], s[14:15], -v[206:207]
	v_fma_f64 v[206:207], v[100:101], s[14:15], v[206:207]
	v_fma_f64 v[224:225], v[100:101], s[22:23], -v[208:209]
	v_fma_f64 v[208:209], v[100:101], s[22:23], v[208:209]
	v_add_f64 v[104:105], v[88:89], v[104:105]
	v_add_f64 v[16:17], v[88:89], v[16:17]
	;; [unrolled: 1-line block ×17, first 2 shown]
	s_delay_alu instid0(VALU_DEP_1)
	v_add_f64 v[18:19], v[146:147], v[18:19]
	s_waitcnt vmcnt(0)
	v_add_f64 v[0:1], v[0:1], v[98:99]
	v_add_f64 v[2:3], v[2:3], v[96:97]
	v_add_f64 v[30:31], v[46:47], -v[96:97]
	v_add_f64 v[38:39], v[48:49], -v[98:99]
	v_add_f64 v[44:45], v[48:49], v[98:99]
	v_add_f64 v[46:47], v[46:47], v[96:97]
	v_mul_f64 v[48:49], v[8:9], s[24:25]
	v_add_f64 v[96:97], v[102:103], v[130:131]
	v_mul_f64 v[98:99], v[8:9], s[34:35]
	v_fma_f64 v[102:103], v[10:11], s[16:17], v[14:15]
	v_fma_f64 v[14:15], v[10:11], s[16:17], -v[14:15]
	v_fma_f64 v[10:11], v[12:13], s[14:15], v[6:7]
	v_fma_f64 v[6:7], v[12:13], s[14:15], -v[6:7]
	v_mul_f64 v[12:13], v[8:9], s[2:3]
	v_mul_f64 v[8:9], v[8:9], s[36:37]
	v_add_f64 v[0:1], v[0:1], v[130:131]
	v_add_f64 v[2:3], v[2:3], v[128:129]
	v_mul_f64 v[128:129], v[36:37], s[34:35]
	v_mul_f64 v[130:131], v[36:37], s[2:3]
	;; [unrolled: 1-line block ×3, first 2 shown]
	v_fma_f64 v[132:133], v[42:43], s[14:15], v[48:49]
	v_fma_f64 v[48:49], v[42:43], s[14:15], -v[48:49]
	v_fma_f64 v[136:137], v[42:43], s[16:17], v[98:99]
	v_fma_f64 v[98:99], v[42:43], s[16:17], -v[98:99]
	v_add_f64 v[102:103], v[90:91], v[102:103]
	v_add_f64 v[14:15], v[90:91], v[14:15]
	;; [unrolled: 1-line block ×4, first 2 shown]
	v_fma_f64 v[88:89], v[42:43], s[20:21], v[12:13]
	v_fma_f64 v[12:13], v[42:43], s[20:21], -v[12:13]
	v_fma_f64 v[90:91], v[42:43], s[18:19], v[8:9]
	v_fma_f64 v[8:9], v[42:43], s[18:19], -v[8:9]
	v_fma_f64 v[42:43], v[92:93], s[14:15], -v[122:123]
	v_fma_f64 v[122:123], v[92:93], s[14:15], v[122:123]
	v_fma_f64 v[194:195], v[96:97], s[16:17], v[186:187]
	v_fma_f64 v[186:187], v[96:97], s[16:17], -v[186:187]
	v_fma_f64 v[196:197], v[96:97], s[14:15], v[188:189]
	v_fma_f64 v[188:189], v[96:97], s[14:15], -v[188:189]
	;; [unrolled: 2-line block ×3, first 2 shown]
	v_add_f64 v[0:1], v[0:1], v[140:141]
	v_add_f64 v[2:3], v[2:3], v[138:139]
	v_fma_f64 v[138:139], v[92:93], s[22:23], -v[126:127]
	v_fma_f64 v[126:127], v[92:93], s[22:23], v[126:127]
	v_fma_f64 v[140:141], v[92:93], s[16:17], -v[128:129]
	v_fma_f64 v[128:129], v[92:93], s[16:17], v[128:129]
	;; [unrolled: 2-line block ×4, first 2 shown]
	v_mul_f64 v[92:93], v[34:35], s[2:3]
	v_mul_f64 v[34:35], v[34:35], s[0:1]
	v_add_f64 v[14:15], v[48:49], v[14:15]
	v_add_f64 v[94:95], v[136:137], v[110:111]
	;; [unrolled: 1-line block ×11, first 2 shown]
	v_mul_f64 v[90:91], v[30:31], s[2:3]
	v_mul_f64 v[106:107], v[30:31], s[24:25]
	v_add_f64 v[20:21], v[126:127], v[20:21]
	v_add_f64 v[28:29], v[140:141], v[28:29]
	;; [unrolled: 1-line block ×7, first 2 shown]
	v_fma_f64 v[152:153], v[120:121], s[20:21], v[92:93]
	v_fma_f64 v[92:93], v[120:121], s[20:21], -v[92:93]
	v_fma_f64 v[168:169], v[120:121], s[22:23], v[34:35]
	v_fma_f64 v[34:35], v[120:121], s[22:23], -v[34:35]
	v_mul_f64 v[120:121], v[50:51], s[2:3]
	v_mul_f64 v[50:51], v[50:51], s[0:1]
	;; [unrolled: 1-line block ×5, first 2 shown]
	v_add_f64 v[48:49], v[154:155], v[48:49]
	v_add_f64 v[94:95], v[156:157], v[94:95]
	v_add_f64 v[12:13], v[150:151], v[12:13]
	v_add_f64 v[22:23], v[148:149], v[22:23]
	v_fma_f64 v[112:113], v[44:45], s[20:21], v[90:91]
	v_fma_f64 v[90:91], v[44:45], s[20:21], -v[90:91]
	v_fma_f64 v[114:115], v[44:45], s[14:15], v[106:107]
	v_fma_f64 v[106:107], v[44:45], s[14:15], -v[106:107]
	v_add_f64 v[24:25], v[158:159], v[24:25]
	v_add_f64 v[130:131], v[0:1], v[234:235]
	;; [unrolled: 1-line block ×9, first 2 shown]
	v_fma_f64 v[176:177], v[124:125], s[20:21], -v[120:121]
	v_fma_f64 v[120:121], v[124:125], s[20:21], v[120:121]
	v_fma_f64 v[184:185], v[124:125], s[22:23], -v[50:51]
	v_fma_f64 v[50:51], v[124:125], s[22:23], v[50:51]
	v_mul_f64 v[124:125], v[32:33], s[26:27]
	v_mul_f64 v[32:33], v[32:33], s[2:3]
	v_fma_f64 v[110:111], v[44:45], s[18:19], v[36:37]
	v_fma_f64 v[36:37], v[44:45], s[18:19], -v[36:37]
	v_fma_f64 v[116:117], v[44:45], s[16:17], v[30:31]
	v_mul_f64 v[34:35], v[38:39], s[0:1]
	v_add_f64 v[22:23], v[188:189], v[22:23]
	v_add_f64 v[20:21], v[204:205], v[20:21]
	;; [unrolled: 1-line block ×7, first 2 shown]
	v_fma_f64 v[192:193], v[96:97], s[18:19], v[124:125]
	v_fma_f64 v[124:125], v[96:97], s[18:19], -v[124:125]
	v_fma_f64 v[202:203], v[96:97], s[20:21], v[32:33]
	v_fma_f64 v[32:33], v[96:97], s[20:21], -v[32:33]
	v_mul_f64 v[96:97], v[40:41], s[26:27]
	v_mul_f64 v[40:41], v[40:41], s[2:3]
	;; [unrolled: 1-line block ×3, first 2 shown]
	v_fma_f64 v[118:119], v[46:47], s[22:23], -v[34:35]
	v_fma_f64 v[34:35], v[46:47], s[22:23], v[34:35]
	v_add_f64 v[22:23], v[90:91], v[22:23]
	v_add_f64 v[14:15], v[124:125], v[14:15]
	;; [unrolled: 1-line block ×4, first 2 shown]
	v_fma_f64 v[210:211], v[100:101], s[18:19], -v[96:97]
	v_fma_f64 v[96:97], v[100:101], s[18:19], v[96:97]
	v_fma_f64 v[226:227], v[100:101], s[20:21], -v[40:41]
	v_fma_f64 v[40:41], v[100:101], s[20:21], v[40:41]
	v_add_f64 v[100:101], v[132:133], v[102:103]
	v_add_f64 v[102:103], v[138:139], v[108:109]
	v_fma_f64 v[108:109], v[44:45], s[22:23], v[10:11]
	v_fma_f64 v[10:11], v[44:45], s[22:23], -v[10:11]
	v_fma_f64 v[44:45], v[44:45], s[16:17], -v[30:31]
	;; [unrolled: 1-line block ×3, first 2 shown]
	v_fma_f64 v[50:51], v[46:47], s[18:19], v[50:51]
	v_add_f64 v[32:33], v[32:33], v[4:5]
	v_add_f64 v[132:133], v[2:3], v[232:233]
	v_add_f64 v[42:43], v[210:211], v[42:43]
	v_add_f64 v[16:17], v[96:97], v[16:17]
	v_add_f64 v[134:135], v[226:227], v[6:7]
	v_add_f64 v[96:97], v[208:209], v[98:99]
	v_add_f64 v[30:31], v[152:153], v[100:101]
	v_add_f64 v[92:93], v[178:179], v[102:103]
	v_add_f64 v[100:101], v[172:173], v[104:105]
	v_add_f64 v[6:7], v[10:11], v[14:15]
	v_add_f64 v[14:15], v[36:37], v[18:19]
	scratch_load_b32 v36, off, off offset:1252 ; 4-byte Folded Reload
	v_mul_f64 v[102:103], v[38:39], s[2:3]
	v_mul_f64 v[104:105], v[38:39], s[24:25]
	;; [unrolled: 1-line block ×3, first 2 shown]
	v_add_f64 v[40:41], v[40:41], v[8:9]
	v_add_f64 v[90:91], v[44:45], v[32:33]
	;; [unrolled: 1-line block ×8, first 2 shown]
	v_fma_f64 v[122:123], v[46:47], s[20:21], -v[102:103]
	v_fma_f64 v[102:103], v[46:47], s[20:21], v[102:103]
	v_fma_f64 v[126:127], v[46:47], s[14:15], -v[104:105]
	v_fma_f64 v[104:105], v[46:47], s[14:15], v[104:105]
	;; [unrolled: 2-line block ×3, first 2 shown]
	v_add_f64 v[46:47], v[194:195], v[48:49]
	v_add_f64 v[48:49], v[212:213], v[92:93]
	;; [unrolled: 1-line block ×19, first 2 shown]
	s_waitcnt vmcnt(0)
	v_lshlrev_b32_e32 v36, 4, v36
	ds_store_b128 v36, v[24:27] offset:32
	ds_store_b128 v36, v[20:23] offset:48
	;; [unrolled: 1-line block ×9, first 2 shown]
	ds_store_b128 v36, v[92:95]
	ds_store_b128 v36, v[32:35] offset:160
.LBB0_13:
	s_or_b32 exec_lo, exec_lo, s33
	s_waitcnt lgkmcnt(0)
	s_barrier
	buffer_gl0_inv
	ds_load_b128 v[0:3], v200 offset:4400
	ds_load_b128 v[88:91], v200 offset:3520
	scratch_load_b128 v[6:9], off, off offset:616 ; 16-byte Folded Reload
	s_mov_b32 s8, 0x134454ff
	s_mov_b32 s9, 0xbfee6f0e
	s_mov_b32 s15, 0x3fee6f0e
	s_mov_b32 s14, s8
	s_mov_b32 s0, 0x4755a5e
	s_mov_b32 s1, 0xbfe2cf23
	s_mov_b32 s3, 0x3fe2cf23
	s_mov_b32 s2, s0
	s_mov_b32 s16, 0x372fe950
	s_mov_b32 s17, 0x3fd3c6ef
	s_waitcnt vmcnt(0) lgkmcnt(1)
	v_mul_f64 v[4:5], v[8:9], v[2:3]
	s_delay_alu instid0(VALU_DEP_1) | instskip(SKIP_1) | instid1(VALU_DEP_1)
	v_fma_f64 v[20:21], v[6:7], v[0:1], v[4:5]
	v_mul_f64 v[0:1], v[8:9], v[0:1]
	v_fma_f64 v[22:23], v[6:7], v[2:3], -v[0:1]
	ds_load_b128 v[0:3], v200 offset:8800
	ds_load_b128 v[4:7], v200 offset:9680
	scratch_load_b128 v[10:13], off, off offset:600 ; 16-byte Folded Reload
	s_waitcnt vmcnt(0) lgkmcnt(1)
	v_mul_f64 v[8:9], v[12:13], v[2:3]
	s_delay_alu instid0(VALU_DEP_1) | instskip(SKIP_1) | instid1(VALU_DEP_1)
	v_fma_f64 v[24:25], v[10:11], v[0:1], v[8:9]
	v_mul_f64 v[0:1], v[12:13], v[0:1]
	v_fma_f64 v[26:27], v[10:11], v[2:3], -v[0:1]
	ds_load_b128 v[0:3], v200 offset:13200
	ds_load_b128 v[8:11], v200 offset:12320
	scratch_load_b128 v[14:17], off, off offset:632 ; 16-byte Folded Reload
	s_waitcnt vmcnt(0) lgkmcnt(1)
	v_mul_f64 v[12:13], v[16:17], v[2:3]
	s_delay_alu instid0(VALU_DEP_1) | instskip(SKIP_1) | instid1(VALU_DEP_2)
	v_fma_f64 v[28:29], v[14:15], v[0:1], v[12:13]
	v_mul_f64 v[0:1], v[16:17], v[0:1]
	v_add_f64 v[144:145], v[24:25], -v[28:29]
	s_delay_alu instid0(VALU_DEP_2)
	v_fma_f64 v[30:31], v[14:15], v[2:3], -v[0:1]
	ds_load_b128 v[0:3], v200 offset:17600
	ds_load_b128 v[12:15], v200 offset:18480
	scratch_load_b128 v[34:37], off, off offset:648 ; 16-byte Folded Reload
	s_waitcnt vmcnt(0) lgkmcnt(1)
	v_mul_f64 v[16:17], v[36:37], v[2:3]
	s_delay_alu instid0(VALU_DEP_1) | instskip(SKIP_1) | instid1(VALU_DEP_2)
	v_fma_f64 v[32:33], v[34:35], v[0:1], v[16:17]
	v_mul_f64 v[0:1], v[36:37], v[0:1]
	v_add_f64 v[146:147], v[20:21], -v[32:33]
	s_delay_alu instid0(VALU_DEP_2)
	v_fma_f64 v[34:35], v[34:35], v[2:3], -v[0:1]
	ds_load_b128 v[0:3], v200 offset:5280
	ds_load_b128 v[16:19], v200 offset:6160
	s_clause 0x1
	scratch_load_b128 v[38:41], off, off offset:664
	scratch_load_b128 v[42:45], off, off offset:680
	s_waitcnt vmcnt(1) lgkmcnt(1)
	v_mul_f64 v[36:37], v[40:41], v[2:3]
	s_delay_alu instid0(VALU_DEP_1) | instskip(SKIP_1) | instid1(VALU_DEP_1)
	v_fma_f64 v[36:37], v[38:39], v[0:1], v[36:37]
	v_mul_f64 v[0:1], v[40:41], v[0:1]
	v_fma_f64 v[38:39], v[38:39], v[2:3], -v[0:1]
	s_waitcnt vmcnt(0)
	v_mul_f64 v[0:1], v[44:45], v[6:7]
	s_delay_alu instid0(VALU_DEP_1) | instskip(SKIP_1) | instid1(VALU_DEP_1)
	v_fma_f64 v[40:41], v[42:43], v[4:5], v[0:1]
	v_mul_f64 v[0:1], v[44:45], v[4:5]
	v_fma_f64 v[42:43], v[42:43], v[6:7], -v[0:1]
	ds_load_b128 v[0:3], v200 offset:14080
	ds_load_b128 v[4:7], v200 offset:14960
	s_clause 0x1
	scratch_load_b128 v[46:49], off, off offset:752
	scratch_load_b128 v[92:95], off, off offset:720
	s_waitcnt vmcnt(1) lgkmcnt(1)
	v_mul_f64 v[44:45], v[48:49], v[2:3]
	s_delay_alu instid0(VALU_DEP_1) | instskip(SKIP_1) | instid1(VALU_DEP_1)
	v_fma_f64 v[44:45], v[46:47], v[0:1], v[44:45]
	v_mul_f64 v[0:1], v[48:49], v[0:1]
	v_fma_f64 v[46:47], v[46:47], v[2:3], -v[0:1]
	s_waitcnt vmcnt(0)
	v_mul_f64 v[0:1], v[94:95], v[14:15]
	s_delay_alu instid0(VALU_DEP_1) | instskip(SKIP_1) | instid1(VALU_DEP_1)
	v_fma_f64 v[48:49], v[92:93], v[12:13], v[0:1]
	v_mul_f64 v[0:1], v[94:95], v[12:13]
	v_fma_f64 v[50:51], v[92:93], v[14:15], -v[0:1]
	scratch_load_b128 v[12:15], off, off offset:800 ; 16-byte Folded Reload
	s_waitcnt vmcnt(0)
	v_mul_f64 v[0:1], v[14:15], v[18:19]
	s_delay_alu instid0(VALU_DEP_1) | instskip(SKIP_1) | instid1(VALU_DEP_1)
	v_fma_f64 v[130:131], v[12:13], v[16:17], v[0:1]
	v_mul_f64 v[0:1], v[14:15], v[16:17]
	v_fma_f64 v[128:129], v[12:13], v[18:19], -v[0:1]
	ds_load_b128 v[0:3], v200 offset:10560
	ds_load_b128 v[12:15], v200 offset:11440
	scratch_load_b128 v[92:95], off, off offset:768 ; 16-byte Folded Reload
	s_waitcnt vmcnt(0) lgkmcnt(1)
	v_mul_f64 v[16:17], v[94:95], v[2:3]
	s_delay_alu instid0(VALU_DEP_1) | instskip(SKIP_2) | instid1(VALU_DEP_1)
	v_fma_f64 v[136:137], v[92:93], v[0:1], v[16:17]
	scratch_load_b128 v[16:19], off, off offset:816 ; 16-byte Folded Reload
	v_mul_f64 v[0:1], v[94:95], v[0:1]
	v_fma_f64 v[138:139], v[92:93], v[2:3], -v[0:1]
	s_waitcnt vmcnt(0)
	v_mul_f64 v[0:1], v[18:19], v[6:7]
	s_delay_alu instid0(VALU_DEP_1) | instskip(SKIP_1) | instid1(VALU_DEP_1)
	v_fma_f64 v[134:135], v[16:17], v[4:5], v[0:1]
	v_mul_f64 v[0:1], v[18:19], v[4:5]
	v_fma_f64 v[132:133], v[16:17], v[6:7], -v[0:1]
	ds_load_b128 v[0:3], v200 offset:19360
	ds_load_b128 v[4:7], v200 offset:20240
	scratch_load_b128 v[92:95], off, off offset:784 ; 16-byte Folded Reload
	s_waitcnt vmcnt(0) lgkmcnt(1)
	v_mul_f64 v[16:17], v[94:95], v[2:3]
	s_delay_alu instid0(VALU_DEP_1) | instskip(SKIP_1) | instid1(VALU_DEP_1)
	v_fma_f64 v[140:141], v[92:93], v[0:1], v[16:17]
	v_mul_f64 v[0:1], v[94:95], v[0:1]
	v_fma_f64 v[142:143], v[92:93], v[2:3], -v[0:1]
	ds_load_b128 v[0:3], v200 offset:7040
	ds_load_b128 v[16:19], v200 offset:7920
	scratch_load_b128 v[94:97], off, off offset:880 ; 16-byte Folded Reload
	s_waitcnt vmcnt(0) lgkmcnt(1)
	v_mul_f64 v[92:93], v[96:97], v[2:3]
	s_delay_alu instid0(VALU_DEP_1) | instskip(SKIP_1) | instid1(VALU_DEP_1)
	v_fma_f64 v[116:117], v[94:95], v[0:1], v[92:93]
	v_mul_f64 v[0:1], v[96:97], v[0:1]
	v_fma_f64 v[112:113], v[94:95], v[2:3], -v[0:1]
	scratch_load_b128 v[92:95], off, off offset:848 ; 16-byte Folded Reload
	s_waitcnt vmcnt(0)
	v_mul_f64 v[0:1], v[94:95], v[14:15]
	s_delay_alu instid0(VALU_DEP_1) | instskip(SKIP_1) | instid1(VALU_DEP_1)
	v_fma_f64 v[120:121], v[92:93], v[12:13], v[0:1]
	v_mul_f64 v[0:1], v[94:95], v[12:13]
	v_fma_f64 v[114:115], v[92:93], v[14:15], -v[0:1]
	ds_load_b128 v[0:3], v200 offset:15840
	ds_load_b128 v[12:15], v200 offset:16720
	scratch_load_b128 v[94:97], off, off offset:864 ; 16-byte Folded Reload
	s_waitcnt vmcnt(0) lgkmcnt(1)
	v_mul_f64 v[92:93], v[96:97], v[2:3]
	s_delay_alu instid0(VALU_DEP_1) | instskip(SKIP_1) | instid1(VALU_DEP_1)
	v_fma_f64 v[122:123], v[94:95], v[0:1], v[92:93]
	v_mul_f64 v[0:1], v[96:97], v[0:1]
	v_fma_f64 v[118:119], v[94:95], v[2:3], -v[0:1]
	scratch_load_b128 v[92:95], off, off offset:832 ; 16-byte Folded Reload
	s_waitcnt vmcnt(0)
	v_mul_f64 v[0:1], v[94:95], v[6:7]
	s_delay_alu instid0(VALU_DEP_1)
	v_fma_f64 v[126:127], v[92:93], v[4:5], v[0:1]
	v_mul_f64 v[0:1], v[94:95], v[4:5]
	scratch_load_b128 v[2:5], off, off offset:584 ; 16-byte Folded Reload
	v_add_f64 v[94:95], v[22:23], -v[34:35]
	v_fma_f64 v[124:125], v[92:93], v[6:7], -v[0:1]
	v_add_f64 v[92:93], v[26:27], -v[30:31]
	s_waitcnt vmcnt(0)
	v_mul_f64 v[0:1], v[4:5], v[18:19]
	s_delay_alu instid0(VALU_DEP_1) | instskip(SKIP_1) | instid1(VALU_DEP_1)
	v_fma_f64 v[100:101], v[2:3], v[16:17], v[0:1]
	v_mul_f64 v[0:1], v[4:5], v[16:17]
	v_fma_f64 v[96:97], v[2:3], v[18:19], -v[0:1]
	scratch_load_b128 v[2:5], off, off offset:568 ; 16-byte Folded Reload
	s_waitcnt vmcnt(0)
	v_mul_f64 v[0:1], v[4:5], v[10:11]
	s_delay_alu instid0(VALU_DEP_1)
	v_fma_f64 v[106:107], v[2:3], v[8:9], v[0:1]
	v_mul_f64 v[0:1], v[4:5], v[8:9]
	scratch_load_b128 v[6:9], off, off offset:536 ; 16-byte Folded Reload
	v_fma_f64 v[98:99], v[2:3], v[10:11], -v[0:1]
	scratch_load_b128 v[2:5], off, off offset:552 ; 16-byte Folded Reload
	s_waitcnt vmcnt(0) lgkmcnt(0)
	v_mul_f64 v[0:1], v[4:5], v[14:15]
	s_delay_alu instid0(VALU_DEP_1) | instskip(SKIP_1) | instid1(VALU_DEP_1)
	v_fma_f64 v[104:105], v[2:3], v[12:13], v[0:1]
	v_mul_f64 v[0:1], v[4:5], v[12:13]
	v_fma_f64 v[102:103], v[2:3], v[14:15], -v[0:1]
	ds_load_b128 v[0:3], v200 offset:21120
	s_waitcnt lgkmcnt(0)
	v_mul_f64 v[4:5], v[8:9], v[2:3]
	s_delay_alu instid0(VALU_DEP_1) | instskip(SKIP_2) | instid1(VALU_DEP_2)
	v_fma_f64 v[110:111], v[6:7], v[0:1], v[4:5]
	v_mul_f64 v[0:1], v[8:9], v[0:1]
	v_add_f64 v[8:9], v[20:21], v[32:33]
	v_fma_f64 v[108:109], v[6:7], v[2:3], -v[0:1]
	v_add_f64 v[0:1], v[24:25], -v[20:21]
	v_add_f64 v[2:3], v[28:29], -v[32:33]
	s_delay_alu instid0(VALU_DEP_1) | instskip(SKIP_2) | instid1(VALU_DEP_1)
	v_add_f64 v[12:13], v[0:1], v[2:3]
	v_add_f64 v[0:1], v[26:27], -v[22:23]
	v_add_f64 v[2:3], v[30:31], -v[34:35]
	v_add_f64 v[14:15], v[0:1], v[2:3]
	ds_load_b128 v[0:3], v200
	ds_load_b128 v[4:7], v200 offset:880
	s_waitcnt lgkmcnt(1)
	v_fma_f64 v[16:17], v[8:9], -0.5, v[0:1]
	v_add_f64 v[8:9], v[22:23], v[34:35]
	s_delay_alu instid0(VALU_DEP_1) | instskip(NEXT) | instid1(VALU_DEP_3)
	v_fma_f64 v[18:19], v[8:9], -0.5, v[2:3]
	v_fma_f64 v[8:9], v[92:93], s[14:15], v[16:17]
	v_fma_f64 v[16:17], v[92:93], s[8:9], v[16:17]
	s_delay_alu instid0(VALU_DEP_3) | instskip(SKIP_1) | instid1(VALU_DEP_4)
	v_fma_f64 v[10:11], v[144:145], s[8:9], v[18:19]
	v_fma_f64 v[18:19], v[144:145], s[14:15], v[18:19]
	;; [unrolled: 1-line block ×3, first 2 shown]
	s_delay_alu instid0(VALU_DEP_4) | instskip(NEXT) | instid1(VALU_DEP_4)
	v_fma_f64 v[16:17], v[94:95], s[2:3], v[16:17]
	v_fma_f64 v[10:11], v[146:147], s[2:3], v[10:11]
	s_delay_alu instid0(VALU_DEP_4) | instskip(NEXT) | instid1(VALU_DEP_4)
	v_fma_f64 v[18:19], v[146:147], s[0:1], v[18:19]
	v_fma_f64 v[8:9], v[12:13], s[16:17], v[8:9]
	s_delay_alu instid0(VALU_DEP_4) | instskip(SKIP_4) | instid1(VALU_DEP_4)
	v_fma_f64 v[12:13], v[12:13], s[16:17], v[16:17]
	v_add_f64 v[16:17], v[24:25], v[28:29]
	v_fma_f64 v[10:11], v[14:15], s[16:17], v[10:11]
	v_fma_f64 v[14:15], v[14:15], s[16:17], v[18:19]
	v_add_f64 v[18:19], v[26:27], v[30:31]
	v_fma_f64 v[16:17], v[16:17], -0.5, v[0:1]
	v_add_f64 v[0:1], v[0:1], v[20:21]
	v_add_f64 v[20:21], v[20:21], -v[24:25]
	s_delay_alu instid0(VALU_DEP_4) | instskip(SKIP_4) | instid1(VALU_DEP_4)
	v_fma_f64 v[18:19], v[18:19], -0.5, v[2:3]
	v_add_f64 v[2:3], v[2:3], v[22:23]
	v_add_f64 v[22:23], v[22:23], -v[26:27]
	v_add_f64 v[0:1], v[0:1], v[24:25]
	v_add_f64 v[24:25], v[32:33], -v[28:29]
	;; [unrolled: 2-line block ×3, first 2 shown]
	s_delay_alu instid0(VALU_DEP_4)
	v_add_f64 v[0:1], v[0:1], v[28:29]
	v_fma_f64 v[28:29], v[94:95], s[8:9], v[16:17]
	v_fma_f64 v[16:17], v[94:95], s[14:15], v[16:17]
	v_add_f64 v[20:21], v[20:21], v[24:25]
	v_add_f64 v[2:3], v[2:3], v[30:31]
	v_fma_f64 v[30:31], v[146:147], s[14:15], v[18:19]
	v_fma_f64 v[18:19], v[146:147], s[8:9], v[18:19]
	v_add_f64 v[22:23], v[22:23], v[26:27]
	v_fma_f64 v[24:25], v[92:93], s[0:1], v[28:29]
	v_fma_f64 v[26:27], v[92:93], s[2:3], v[16:17]
	v_add_f64 v[0:1], v[0:1], v[32:33]
	v_add_f64 v[32:33], v[48:49], -v[44:45]
	v_add_f64 v[2:3], v[2:3], v[34:35]
	v_fma_f64 v[28:29], v[144:145], s[2:3], v[30:31]
	v_fma_f64 v[30:31], v[144:145], s[0:1], v[18:19]
	v_add_f64 v[34:35], v[50:51], -v[46:47]
	v_fma_f64 v[16:17], v[20:21], s[16:17], v[24:25]
	v_fma_f64 v[20:21], v[20:21], s[16:17], v[26:27]
	ds_load_b128 v[24:27], v200 offset:1760
	ds_load_b128 v[92:95], v200 offset:2640
	s_waitcnt lgkmcnt(0)
	s_barrier
	buffer_gl0_inv
	v_fma_f64 v[18:19], v[22:23], s[16:17], v[28:29]
	scratch_load_b32 v28, off, off offset:904 ; 4-byte Folded Reload
	v_fma_f64 v[22:23], v[22:23], s[16:17], v[30:31]
	v_add_f64 v[30:31], v[38:39], -v[42:43]
	s_waitcnt vmcnt(0)
	ds_store_b128 v28, v[0:3]
	ds_store_b128 v28, v[16:19] offset:176
	ds_store_b128 v28, v[8:11] offset:352
	;; [unrolled: 1-line block ×4, first 2 shown]
	v_add_f64 v[0:1], v[40:41], -v[36:37]
	v_add_f64 v[2:3], v[44:45], -v[48:49]
	;; [unrolled: 1-line block ×7, first 2 shown]
	v_add_f64 v[8:9], v[0:1], v[2:3]
	v_add_f64 v[0:1], v[42:43], -v[38:39]
	v_add_f64 v[2:3], v[46:47], -v[50:51]
	s_delay_alu instid0(VALU_DEP_1) | instskip(SKIP_1) | instid1(VALU_DEP_1)
	v_add_f64 v[10:11], v[0:1], v[2:3]
	v_add_f64 v[0:1], v[36:37], v[48:49]
	v_fma_f64 v[12:13], v[0:1], -0.5, v[4:5]
	v_add_f64 v[0:1], v[38:39], v[50:51]
	s_delay_alu instid0(VALU_DEP_1) | instskip(NEXT) | instid1(VALU_DEP_3)
	v_fma_f64 v[14:15], v[0:1], -0.5, v[6:7]
	v_fma_f64 v[0:1], v[16:17], s[14:15], v[12:13]
	v_fma_f64 v[12:13], v[16:17], s[8:9], v[12:13]
	s_delay_alu instid0(VALU_DEP_3) | instskip(SKIP_1) | instid1(VALU_DEP_4)
	v_fma_f64 v[2:3], v[20:21], s[8:9], v[14:15]
	v_fma_f64 v[14:15], v[20:21], s[14:15], v[14:15]
	;; [unrolled: 1-line block ×3, first 2 shown]
	s_delay_alu instid0(VALU_DEP_4) | instskip(NEXT) | instid1(VALU_DEP_4)
	v_fma_f64 v[12:13], v[18:19], s[2:3], v[12:13]
	v_fma_f64 v[2:3], v[22:23], s[2:3], v[2:3]
	s_delay_alu instid0(VALU_DEP_4) | instskip(NEXT) | instid1(VALU_DEP_4)
	v_fma_f64 v[14:15], v[22:23], s[0:1], v[14:15]
	v_fma_f64 v[0:1], v[8:9], s[16:17], v[0:1]
	s_delay_alu instid0(VALU_DEP_4) | instskip(SKIP_4) | instid1(VALU_DEP_4)
	v_fma_f64 v[8:9], v[8:9], s[16:17], v[12:13]
	v_add_f64 v[12:13], v[40:41], v[44:45]
	v_fma_f64 v[2:3], v[10:11], s[16:17], v[2:3]
	v_fma_f64 v[10:11], v[10:11], s[16:17], v[14:15]
	v_add_f64 v[14:15], v[42:43], v[46:47]
	v_fma_f64 v[12:13], v[12:13], -0.5, v[4:5]
	v_add_f64 v[4:5], v[4:5], v[36:37]
	s_delay_alu instid0(VALU_DEP_3) | instskip(SKIP_1) | instid1(VALU_DEP_4)
	v_fma_f64 v[14:15], v[14:15], -0.5, v[6:7]
	v_add_f64 v[6:7], v[6:7], v[38:39]
	v_fma_f64 v[36:37], v[18:19], s[8:9], v[12:13]
	v_fma_f64 v[12:13], v[18:19], s[14:15], v[12:13]
	v_add_f64 v[4:5], v[4:5], v[40:41]
	v_fma_f64 v[18:19], v[22:23], s[14:15], v[14:15]
	v_fma_f64 v[14:15], v[22:23], s[8:9], v[14:15]
	v_add_f64 v[22:23], v[28:29], v[32:33]
	v_add_f64 v[28:29], v[30:31], v[34:35]
	;; [unrolled: 1-line block ×4, first 2 shown]
	v_fma_f64 v[30:31], v[16:17], s[0:1], v[36:37]
	v_fma_f64 v[16:17], v[16:17], s[2:3], v[12:13]
	;; [unrolled: 1-line block ×4, first 2 shown]
	v_add_f64 v[6:7], v[6:7], v[46:47]
	v_add_f64 v[4:5], v[4:5], v[48:49]
	v_fma_f64 v[12:13], v[22:23], s[16:17], v[30:31]
	v_fma_f64 v[16:17], v[22:23], s[16:17], v[16:17]
	v_add_f64 v[22:23], v[26:27], v[128:129]
	v_add_f64 v[30:31], v[142:143], -v[132:133]
	v_fma_f64 v[14:15], v[28:29], s[16:17], v[18:19]
	v_fma_f64 v[18:19], v[28:29], s[16:17], v[20:21]
	scratch_load_b32 v20, off, off offset:900 ; 4-byte Folded Reload
	v_add_f64 v[6:7], v[6:7], v[50:51]
	s_waitcnt vmcnt(0)
	ds_store_b128 v20, v[4:7]
	ds_store_b128 v20, v[12:15] offset:176
	ds_store_b128 v20, v[0:3] offset:352
	;; [unrolled: 1-line block ×4, first 2 shown]
	v_add_f64 v[0:1], v[136:137], -v[130:131]
	v_add_f64 v[2:3], v[134:135], -v[140:141]
	;; [unrolled: 1-line block ×6, first 2 shown]
	v_add_f64 v[22:23], v[22:23], v[138:139]
	v_add_f64 v[4:5], v[0:1], v[2:3]
	v_add_f64 v[0:1], v[138:139], -v[128:129]
	v_add_f64 v[2:3], v[132:133], -v[142:143]
	s_delay_alu instid0(VALU_DEP_1) | instskip(SKIP_1) | instid1(VALU_DEP_1)
	v_add_f64 v[6:7], v[0:1], v[2:3]
	v_add_f64 v[0:1], v[130:131], v[140:141]
	v_fma_f64 v[8:9], v[0:1], -0.5, v[24:25]
	v_add_f64 v[0:1], v[128:129], v[142:143]
	s_delay_alu instid0(VALU_DEP_1) | instskip(NEXT) | instid1(VALU_DEP_3)
	v_fma_f64 v[10:11], v[0:1], -0.5, v[26:27]
	v_fma_f64 v[0:1], v[12:13], s[14:15], v[8:9]
	v_fma_f64 v[8:9], v[12:13], s[8:9], v[8:9]
	s_delay_alu instid0(VALU_DEP_3) | instskip(SKIP_1) | instid1(VALU_DEP_4)
	v_fma_f64 v[2:3], v[16:17], s[8:9], v[10:11]
	v_fma_f64 v[10:11], v[16:17], s[14:15], v[10:11]
	;; [unrolled: 1-line block ×3, first 2 shown]
	s_delay_alu instid0(VALU_DEP_4) | instskip(NEXT) | instid1(VALU_DEP_4)
	v_fma_f64 v[8:9], v[14:15], s[2:3], v[8:9]
	v_fma_f64 v[2:3], v[18:19], s[2:3], v[2:3]
	s_delay_alu instid0(VALU_DEP_4) | instskip(NEXT) | instid1(VALU_DEP_4)
	v_fma_f64 v[10:11], v[18:19], s[0:1], v[10:11]
	v_fma_f64 v[0:1], v[4:5], s[16:17], v[0:1]
	s_delay_alu instid0(VALU_DEP_4) | instskip(SKIP_4) | instid1(VALU_DEP_4)
	v_fma_f64 v[4:5], v[4:5], s[16:17], v[8:9]
	v_add_f64 v[8:9], v[136:137], v[134:135]
	v_fma_f64 v[2:3], v[6:7], s[16:17], v[2:3]
	v_fma_f64 v[6:7], v[6:7], s[16:17], v[10:11]
	v_add_f64 v[10:11], v[138:139], v[132:133]
	v_fma_f64 v[8:9], v[8:9], -0.5, v[24:25]
	s_delay_alu instid0(VALU_DEP_2) | instskip(SKIP_2) | instid1(VALU_DEP_4)
	v_fma_f64 v[20:21], v[10:11], -0.5, v[26:27]
	v_add_f64 v[10:11], v[24:25], v[130:131]
	v_add_f64 v[24:25], v[130:131], -v[136:137]
	v_fma_f64 v[28:29], v[14:15], s[8:9], v[8:9]
	v_fma_f64 v[14:15], v[14:15], s[14:15], v[8:9]
	v_add_f64 v[26:27], v[128:129], -v[138:139]
	v_fma_f64 v[32:33], v[18:19], s[14:15], v[20:21]
	v_add_f64 v[10:11], v[10:11], v[136:137]
	v_fma_f64 v[18:19], v[18:19], s[8:9], v[20:21]
	s_delay_alu instid0(VALU_DEP_4) | instskip(SKIP_1) | instid1(VALU_DEP_4)
	v_add_f64 v[26:27], v[26:27], v[30:31]
	v_add_f64 v[30:31], v[124:125], -v[118:119]
	v_add_f64 v[8:9], v[10:11], v[134:135]
	v_add_f64 v[10:11], v[22:23], v[132:133]
	v_add_f64 v[22:23], v[140:141], -v[134:135]
	v_fma_f64 v[18:19], v[16:17], s[0:1], v[18:19]
	s_delay_alu instid0(VALU_DEP_4) | instskip(NEXT) | instid1(VALU_DEP_4)
	v_add_f64 v[8:9], v[8:9], v[140:141]
	v_add_f64 v[10:11], v[10:11], v[142:143]
	s_delay_alu instid0(VALU_DEP_4) | instskip(SKIP_4) | instid1(VALU_DEP_4)
	v_add_f64 v[20:21], v[24:25], v[22:23]
	v_fma_f64 v[22:23], v[12:13], s[0:1], v[28:29]
	v_fma_f64 v[24:25], v[12:13], s[2:3], v[14:15]
	;; [unrolled: 1-line block ×5, first 2 shown]
	s_delay_alu instid0(VALU_DEP_4)
	v_fma_f64 v[16:17], v[20:21], s[16:17], v[24:25]
	scratch_load_b32 v20, off, off offset:896 ; 4-byte Folded Reload
	v_fma_f64 v[14:15], v[26:27], s[16:17], v[14:15]
	v_add_f64 v[22:23], v[94:95], v[112:113]
	v_add_f64 v[24:25], v[116:117], -v[120:121]
	s_waitcnt vmcnt(0)
	ds_store_b128 v20, v[8:11]
	ds_store_b128 v20, v[12:15] offset:176
	ds_store_b128 v20, v[0:3] offset:352
	;; [unrolled: 1-line block ×4, first 2 shown]
	v_add_f64 v[0:1], v[120:121], -v[116:117]
	v_add_f64 v[2:3], v[122:123], -v[126:127]
	;; [unrolled: 1-line block ×6, first 2 shown]
	v_add_f64 v[20:21], v[92:93], v[116:117]
	v_add_f64 v[4:5], v[0:1], v[2:3]
	v_add_f64 v[0:1], v[114:115], -v[112:113]
	v_add_f64 v[2:3], v[118:119], -v[124:125]
	s_delay_alu instid0(VALU_DEP_4) | instskip(NEXT) | instid1(VALU_DEP_2)
	v_add_f64 v[20:21], v[20:21], v[120:121]
	v_add_f64 v[6:7], v[0:1], v[2:3]
	v_add_f64 v[0:1], v[116:117], v[126:127]
	v_add_f64 v[2:3], v[112:113], v[124:125]
	s_delay_alu instid0(VALU_DEP_2) | instskip(NEXT) | instid1(VALU_DEP_2)
	v_fma_f64 v[8:9], v[0:1], -0.5, v[92:93]
	v_fma_f64 v[14:15], v[2:3], -0.5, v[94:95]
	s_delay_alu instid0(VALU_DEP_2) | instskip(SKIP_1) | instid1(VALU_DEP_3)
	v_fma_f64 v[0:1], v[12:13], s[14:15], v[8:9]
	v_fma_f64 v[8:9], v[12:13], s[8:9], v[8:9]
	;; [unrolled: 1-line block ×4, first 2 shown]
	s_delay_alu instid0(VALU_DEP_4) | instskip(NEXT) | instid1(VALU_DEP_4)
	v_fma_f64 v[0:1], v[10:11], s[0:1], v[0:1]
	v_fma_f64 v[8:9], v[10:11], s[2:3], v[8:9]
	s_delay_alu instid0(VALU_DEP_4) | instskip(NEXT) | instid1(VALU_DEP_4)
	v_fma_f64 v[2:3], v[18:19], s[2:3], v[2:3]
	v_fma_f64 v[14:15], v[18:19], s[0:1], v[14:15]
	;; [unrolled: 3-line block ×3, first 2 shown]
	v_add_f64 v[8:9], v[120:121], v[122:123]
	v_fma_f64 v[2:3], v[6:7], s[16:17], v[2:3]
	v_fma_f64 v[6:7], v[6:7], s[16:17], v[14:15]
	v_add_f64 v[14:15], v[114:115], v[118:119]
	s_delay_alu instid0(VALU_DEP_4) | instskip(NEXT) | instid1(VALU_DEP_2)
	v_fma_f64 v[8:9], v[8:9], -0.5, v[92:93]
	v_fma_f64 v[14:15], v[14:15], -0.5, v[94:95]
	s_delay_alu instid0(VALU_DEP_2)
	v_fma_f64 v[26:27], v[10:11], s[8:9], v[8:9]
	v_fma_f64 v[28:29], v[10:11], s[14:15], v[8:9]
	v_add_f64 v[8:9], v[22:23], v[114:115]
	v_add_f64 v[10:11], v[20:21], v[122:123]
	v_add_f64 v[22:23], v[126:127], -v[122:123]
	v_fma_f64 v[32:33], v[18:19], s[14:15], v[14:15]
	v_fma_f64 v[14:15], v[18:19], s[8:9], v[14:15]
	v_add_f64 v[20:21], v[8:9], v[118:119]
	v_add_f64 v[8:9], v[10:11], v[126:127]
	;; [unrolled: 1-line block ×3, first 2 shown]
	v_fma_f64 v[22:23], v[12:13], s[0:1], v[26:27]
	v_fma_f64 v[24:25], v[12:13], s[2:3], v[28:29]
	;; [unrolled: 1-line block ×4, first 2 shown]
	v_add_f64 v[10:11], v[20:21], v[124:125]
	v_add_f64 v[20:21], v[112:113], -v[114:115]
	v_fma_f64 v[12:13], v[18:19], s[16:17], v[22:23]
	v_fma_f64 v[16:17], v[18:19], s[16:17], v[24:25]
	v_add_f64 v[22:23], v[90:91], v[96:97]
	v_add_f64 v[24:25], v[100:101], -v[106:107]
	v_add_f64 v[20:21], v[20:21], v[30:31]
	v_add_f64 v[30:31], v[108:109], -v[102:103]
	s_delay_alu instid0(VALU_DEP_2)
	v_fma_f64 v[14:15], v[20:21], s[16:17], v[26:27]
	v_fma_f64 v[18:19], v[20:21], s[16:17], v[28:29]
	scratch_load_b32 v20, off, off offset:716 ; 4-byte Folded Reload
	s_waitcnt vmcnt(0)
	ds_store_b128 v20, v[8:11]
	ds_store_b128 v20, v[12:15] offset:176
	ds_store_b128 v20, v[0:3] offset:352
	;; [unrolled: 1-line block ×4, first 2 shown]
	v_add_f64 v[0:1], v[106:107], -v[100:101]
	v_add_f64 v[2:3], v[104:105], -v[110:111]
	;; [unrolled: 1-line block ×6, first 2 shown]
	v_add_f64 v[20:21], v[88:89], v[100:101]
	v_add_f64 v[4:5], v[0:1], v[2:3]
	v_add_f64 v[0:1], v[98:99], -v[96:97]
	v_add_f64 v[2:3], v[102:103], -v[108:109]
	s_delay_alu instid0(VALU_DEP_4) | instskip(NEXT) | instid1(VALU_DEP_2)
	v_add_f64 v[20:21], v[20:21], v[106:107]
	v_add_f64 v[6:7], v[0:1], v[2:3]
	;; [unrolled: 1-line block ×4, first 2 shown]
	s_delay_alu instid0(VALU_DEP_2) | instskip(NEXT) | instid1(VALU_DEP_2)
	v_fma_f64 v[8:9], v[0:1], -0.5, v[88:89]
	v_fma_f64 v[14:15], v[2:3], -0.5, v[90:91]
	s_delay_alu instid0(VALU_DEP_2) | instskip(SKIP_1) | instid1(VALU_DEP_3)
	v_fma_f64 v[0:1], v[12:13], s[14:15], v[8:9]
	v_fma_f64 v[8:9], v[12:13], s[8:9], v[8:9]
	;; [unrolled: 1-line block ×4, first 2 shown]
	s_delay_alu instid0(VALU_DEP_4) | instskip(NEXT) | instid1(VALU_DEP_4)
	v_fma_f64 v[0:1], v[10:11], s[0:1], v[0:1]
	v_fma_f64 v[8:9], v[10:11], s[2:3], v[8:9]
	s_delay_alu instid0(VALU_DEP_4) | instskip(NEXT) | instid1(VALU_DEP_4)
	v_fma_f64 v[2:3], v[18:19], s[2:3], v[2:3]
	v_fma_f64 v[14:15], v[18:19], s[0:1], v[14:15]
	;; [unrolled: 3-line block ×3, first 2 shown]
	v_add_f64 v[8:9], v[106:107], v[104:105]
	v_fma_f64 v[2:3], v[6:7], s[16:17], v[2:3]
	v_fma_f64 v[6:7], v[6:7], s[16:17], v[14:15]
	v_add_f64 v[14:15], v[98:99], v[102:103]
	s_delay_alu instid0(VALU_DEP_4) | instskip(NEXT) | instid1(VALU_DEP_2)
	v_fma_f64 v[8:9], v[8:9], -0.5, v[88:89]
	v_fma_f64 v[14:15], v[14:15], -0.5, v[90:91]
	s_delay_alu instid0(VALU_DEP_2)
	v_fma_f64 v[26:27], v[10:11], s[8:9], v[8:9]
	v_fma_f64 v[28:29], v[10:11], s[14:15], v[8:9]
	v_add_f64 v[8:9], v[22:23], v[98:99]
	v_add_f64 v[10:11], v[20:21], v[104:105]
	v_add_f64 v[22:23], v[110:111], -v[104:105]
	v_fma_f64 v[32:33], v[18:19], s[14:15], v[14:15]
	v_fma_f64 v[14:15], v[18:19], s[8:9], v[14:15]
	v_add_f64 v[20:21], v[8:9], v[102:103]
	v_add_f64 v[8:9], v[10:11], v[110:111]
	;; [unrolled: 1-line block ×3, first 2 shown]
	v_fma_f64 v[22:23], v[12:13], s[0:1], v[26:27]
	v_fma_f64 v[24:25], v[12:13], s[2:3], v[28:29]
	;; [unrolled: 1-line block ×4, first 2 shown]
	v_add_f64 v[10:11], v[20:21], v[108:109]
	v_add_f64 v[20:21], v[96:97], -v[98:99]
	v_fma_f64 v[12:13], v[18:19], s[16:17], v[22:23]
	v_fma_f64 v[16:17], v[18:19], s[16:17], v[24:25]
	s_delay_alu instid0(VALU_DEP_3) | instskip(NEXT) | instid1(VALU_DEP_1)
	v_add_f64 v[20:21], v[20:21], v[30:31]
	v_fma_f64 v[14:15], v[20:21], s[16:17], v[26:27]
	v_fma_f64 v[18:19], v[20:21], s[16:17], v[28:29]
	scratch_load_b32 v20, off, off offset:696 ; 4-byte Folded Reload
	s_waitcnt vmcnt(0)
	ds_store_b128 v20, v[8:11]
	ds_store_b128 v20, v[12:15] offset:176
	ds_store_b128 v20, v[0:3] offset:352
	;; [unrolled: 1-line block ×4, first 2 shown]
	s_waitcnt lgkmcnt(0)
	s_barrier
	buffer_gl0_inv
	ds_load_b128 v[88:91], v200 offset:4400
	ds_load_b128 v[92:95], v200 offset:3520
	s_waitcnt lgkmcnt(1)
	v_mul_f64 v[0:1], v[166:167], v[90:91]
	s_delay_alu instid0(VALU_DEP_1) | instskip(SKIP_1) | instid1(VALU_DEP_1)
	v_fma_f64 v[30:31], v[164:165], v[88:89], v[0:1]
	v_mul_f64 v[0:1], v[166:167], v[88:89]
	v_fma_f64 v[32:33], v[164:165], v[90:91], -v[0:1]
	ds_load_b128 v[0:3], v200 offset:5280
	ds_load_b128 v[4:7], v200 offset:6160
	s_waitcnt lgkmcnt(1)
	v_mul_f64 v[8:9], v[166:167], v[2:3]
	s_delay_alu instid0(VALU_DEP_1) | instskip(SKIP_1) | instid1(VALU_DEP_1)
	v_fma_f64 v[34:35], v[164:165], v[0:1], v[8:9]
	v_mul_f64 v[0:1], v[166:167], v[0:1]
	v_fma_f64 v[36:37], v[164:165], v[2:3], -v[0:1]
	ds_load_b128 v[0:3], v200 offset:8800
	ds_load_b128 v[8:11], v200 offset:9680
	s_waitcnt lgkmcnt(1)
	v_mul_f64 v[12:13], v[162:163], v[2:3]
	s_delay_alu instid0(VALU_DEP_1) | instskip(SKIP_1) | instid1(VALU_DEP_1)
	v_fma_f64 v[38:39], v[160:161], v[0:1], v[12:13]
	v_mul_f64 v[0:1], v[162:163], v[0:1]
	v_fma_f64 v[40:41], v[160:161], v[2:3], -v[0:1]
	s_waitcnt lgkmcnt(0)
	v_mul_f64 v[0:1], v[162:163], v[10:11]
	s_delay_alu instid0(VALU_DEP_1) | instskip(SKIP_1) | instid1(VALU_DEP_1)
	v_fma_f64 v[42:43], v[160:161], v[8:9], v[0:1]
	v_mul_f64 v[0:1], v[162:163], v[8:9]
	v_fma_f64 v[44:45], v[160:161], v[10:11], -v[0:1]
	ds_load_b128 v[0:3], v200 offset:13200
	ds_load_b128 v[10:13], v200 offset:12320
	s_waitcnt lgkmcnt(1)
	v_mul_f64 v[8:9], v[222:223], v[2:3]
	s_delay_alu instid0(VALU_DEP_1) | instskip(SKIP_1) | instid1(VALU_DEP_2)
	v_fma_f64 v[46:47], v[220:221], v[0:1], v[8:9]
	v_mul_f64 v[0:1], v[222:223], v[0:1]
	v_add_f64 v[130:131], v[38:39], -v[46:47]
	s_delay_alu instid0(VALU_DEP_2)
	v_fma_f64 v[48:49], v[220:221], v[2:3], -v[0:1]
	ds_load_b128 v[0:3], v200 offset:14080
	ds_load_b128 v[14:17], v200 offset:14960
	s_waitcnt lgkmcnt(1)
	v_mul_f64 v[8:9], v[222:223], v[2:3]
	v_add_f64 v[118:119], v[40:41], -v[48:49]
	s_delay_alu instid0(VALU_DEP_2) | instskip(SKIP_1) | instid1(VALU_DEP_2)
	v_fma_f64 v[50:51], v[220:221], v[0:1], v[8:9]
	v_mul_f64 v[0:1], v[222:223], v[0:1]
	v_add_f64 v[134:135], v[42:43], -v[50:51]
	s_delay_alu instid0(VALU_DEP_2) | instskip(SKIP_4) | instid1(VALU_DEP_1)
	v_fma_f64 v[124:125], v[220:221], v[2:3], -v[0:1]
	ds_load_b128 v[0:3], v200 offset:17600
	ds_load_b128 v[18:21], v200 offset:18480
	s_waitcnt lgkmcnt(1)
	v_mul_f64 v[8:9], v[218:219], v[2:3]
	v_fma_f64 v[112:113], v[216:217], v[0:1], v[8:9]
	v_mul_f64 v[0:1], v[218:219], v[0:1]
	s_delay_alu instid0(VALU_DEP_2) | instskip(NEXT) | instid1(VALU_DEP_2)
	v_add_f64 v[122:123], v[30:31], -v[112:113]
	v_fma_f64 v[114:115], v[216:217], v[2:3], -v[0:1]
	s_waitcnt lgkmcnt(0)
	v_mul_f64 v[0:1], v[218:219], v[20:21]
	s_delay_alu instid0(VALU_DEP_2) | instskip(NEXT) | instid1(VALU_DEP_2)
	v_add_f64 v[116:117], v[32:33], -v[114:115]
	v_fma_f64 v[126:127], v[216:217], v[18:19], v[0:1]
	v_mul_f64 v[0:1], v[218:219], v[18:19]
	s_delay_alu instid0(VALU_DEP_2) | instskip(NEXT) | instid1(VALU_DEP_2)
	v_add_f64 v[132:133], v[34:35], -v[126:127]
	v_fma_f64 v[128:129], v[216:217], v[20:21], -v[0:1]
	scratch_load_b128 v[18:21], off, off offset:948 ; 16-byte Folded Reload
	s_waitcnt vmcnt(0)
	v_mul_f64 v[0:1], v[20:21], v[6:7]
	s_delay_alu instid0(VALU_DEP_1) | instskip(SKIP_1) | instid1(VALU_DEP_1)
	v_fma_f64 v[148:149], v[18:19], v[4:5], v[0:1]
	v_mul_f64 v[0:1], v[20:21], v[4:5]
	v_fma_f64 v[150:151], v[18:19], v[6:7], -v[0:1]
	ds_load_b128 v[0:3], v200 offset:10560
	ds_load_b128 v[4:7], v200 offset:11440
	scratch_load_b128 v[18:21], off, off offset:916 ; 16-byte Folded Reload
	s_waitcnt vmcnt(0) lgkmcnt(1)
	v_mul_f64 v[8:9], v[20:21], v[2:3]
	s_delay_alu instid0(VALU_DEP_1) | instskip(SKIP_1) | instid1(VALU_DEP_1)
	v_fma_f64 v[152:153], v[18:19], v[0:1], v[8:9]
	v_mul_f64 v[0:1], v[20:21], v[0:1]
	v_fma_f64 v[154:155], v[18:19], v[2:3], -v[0:1]
	scratch_load_b128 v[18:21], off, off offset:964 ; 16-byte Folded Reload
	s_waitcnt vmcnt(0)
	v_mul_f64 v[0:1], v[20:21], v[16:17]
	s_delay_alu instid0(VALU_DEP_1) | instskip(SKIP_1) | instid1(VALU_DEP_1)
	v_fma_f64 v[156:157], v[18:19], v[14:15], v[0:1]
	v_mul_f64 v[0:1], v[20:21], v[14:15]
	v_fma_f64 v[158:159], v[18:19], v[16:17], -v[0:1]
	ds_load_b128 v[0:3], v200 offset:19360
	ds_load_b128 v[14:17], v200 offset:20240
	scratch_load_b128 v[18:21], off, off offset:932 ; 16-byte Folded Reload
	s_waitcnt vmcnt(0) lgkmcnt(1)
	v_mul_f64 v[8:9], v[20:21], v[2:3]
	s_delay_alu instid0(VALU_DEP_1) | instskip(SKIP_1) | instid1(VALU_DEP_1)
	v_fma_f64 v[160:161], v[18:19], v[0:1], v[8:9]
	v_mul_f64 v[0:1], v[20:21], v[0:1]
	v_fma_f64 v[162:163], v[18:19], v[2:3], -v[0:1]
	ds_load_b128 v[0:3], v200 offset:7040
	ds_load_b128 v[18:21], v200 offset:7920
	scratch_load_b128 v[22:25], off, off offset:1012 ; 16-byte Folded Reload
	s_waitcnt vmcnt(0) lgkmcnt(1)
	v_mul_f64 v[8:9], v[24:25], v[2:3]
	s_delay_alu instid0(VALU_DEP_1) | instskip(SKIP_1) | instid1(VALU_DEP_1)
	v_fma_f64 v[96:97], v[22:23], v[0:1], v[8:9]
	v_mul_f64 v[0:1], v[24:25], v[0:1]
	v_fma_f64 v[98:99], v[22:23], v[2:3], -v[0:1]
	scratch_load_b128 v[22:25], off, off offset:980 ; 16-byte Folded Reload
	s_waitcnt vmcnt(0)
	v_mul_f64 v[0:1], v[24:25], v[6:7]
	s_delay_alu instid0(VALU_DEP_1) | instskip(SKIP_1) | instid1(VALU_DEP_1)
	v_fma_f64 v[100:101], v[22:23], v[4:5], v[0:1]
	v_mul_f64 v[0:1], v[24:25], v[4:5]
	v_fma_f64 v[102:103], v[22:23], v[6:7], -v[0:1]
	ds_load_b128 v[0:3], v200 offset:15840
	ds_load_b128 v[4:7], v200 offset:16720
	scratch_load_b128 v[22:25], off, off offset:1028 ; 16-byte Folded Reload
	s_waitcnt vmcnt(0) lgkmcnt(1)
	v_mul_f64 v[8:9], v[24:25], v[2:3]
	s_delay_alu instid0(VALU_DEP_1) | instskip(SKIP_1) | instid1(VALU_DEP_1)
	v_fma_f64 v[104:105], v[22:23], v[0:1], v[8:9]
	v_mul_f64 v[0:1], v[24:25], v[0:1]
	v_fma_f64 v[106:107], v[22:23], v[2:3], -v[0:1]
	scratch_load_b128 v[22:25], off, off offset:996 ; 16-byte Folded Reload
	s_waitcnt vmcnt(0)
	v_mul_f64 v[0:1], v[24:25], v[16:17]
	s_delay_alu instid0(VALU_DEP_1) | instskip(SKIP_2) | instid1(VALU_DEP_2)
	v_fma_f64 v[108:109], v[22:23], v[14:15], v[0:1]
	v_mul_f64 v[0:1], v[24:25], v[14:15]
	v_add_f64 v[24:25], v[40:41], v[48:49]
	v_fma_f64 v[110:111], v[22:23], v[16:17], -v[0:1]
	scratch_load_b128 v[14:17], off, off offset:1076 ; 16-byte Folded Reload
	v_add_f64 v[22:23], v[38:39], v[46:47]
	s_waitcnt vmcnt(0)
	v_mul_f64 v[0:1], v[16:17], v[20:21]
	s_delay_alu instid0(VALU_DEP_1) | instskip(SKIP_1) | instid1(VALU_DEP_1)
	v_fma_f64 v[88:89], v[14:15], v[18:19], v[0:1]
	v_mul_f64 v[0:1], v[16:17], v[18:19]
	v_fma_f64 v[8:9], v[14:15], v[20:21], -v[0:1]
	scratch_load_b128 v[14:17], off, off offset:1044 ; 16-byte Folded Reload
	s_waitcnt vmcnt(0)
	v_mul_f64 v[0:1], v[16:17], v[12:13]
	s_delay_alu instid0(VALU_DEP_1) | instskip(SKIP_1) | instid1(VALU_DEP_1)
	v_fma_f64 v[90:91], v[14:15], v[10:11], v[0:1]
	v_mul_f64 v[0:1], v[16:17], v[10:11]
	v_fma_f64 v[0:1], v[14:15], v[12:13], -v[0:1]
	scratch_load_b128 v[12:15], off, off offset:1092 ; 16-byte Folded Reload
	s_waitcnt vmcnt(0) lgkmcnt(0)
	v_mul_f64 v[2:3], v[14:15], v[6:7]
	s_delay_alu instid0(VALU_DEP_1)
	v_fma_f64 v[10:11], v[12:13], v[4:5], v[2:3]
	v_mul_f64 v[2:3], v[14:15], v[4:5]
	scratch_load_b128 v[14:17], off, off offset:1060 ; 16-byte Folded Reload
	v_fma_f64 v[2:3], v[12:13], v[6:7], -v[2:3]
	ds_load_b128 v[4:7], v200 offset:21120
	s_waitcnt vmcnt(0) lgkmcnt(0)
	v_mul_f64 v[12:13], v[16:17], v[6:7]
	s_delay_alu instid0(VALU_DEP_1) | instskip(SKIP_2) | instid1(VALU_DEP_2)
	v_fma_f64 v[12:13], v[14:15], v[4:5], v[12:13]
	v_mul_f64 v[4:5], v[16:17], v[4:5]
	v_add_f64 v[16:17], v[114:115], -v[48:49]
	v_fma_f64 v[4:5], v[14:15], v[6:7], -v[4:5]
	v_add_f64 v[6:7], v[30:31], -v[38:39]
	v_add_f64 v[14:15], v[112:113], -v[46:47]
	s_delay_alu instid0(VALU_DEP_1) | instskip(SKIP_1) | instid1(VALU_DEP_1)
	v_add_f64 v[6:7], v[6:7], v[14:15]
	v_add_f64 v[14:15], v[32:33], -v[40:41]
	v_add_f64 v[28:29], v[14:15], v[16:17]
	ds_load_b128 v[14:17], v200
	ds_load_b128 v[18:21], v200 offset:880
	s_waitcnt lgkmcnt(1)
	v_fma_f64 v[26:27], v[22:23], -0.5, v[14:15]
	v_fma_f64 v[120:121], v[24:25], -0.5, v[16:17]
	s_delay_alu instid0(VALU_DEP_2) | instskip(SKIP_1) | instid1(VALU_DEP_3)
	v_fma_f64 v[22:23], v[116:117], s[8:9], v[26:27]
	v_fma_f64 v[26:27], v[116:117], s[14:15], v[26:27]
	;; [unrolled: 1-line block ×4, first 2 shown]
	s_delay_alu instid0(VALU_DEP_4) | instskip(NEXT) | instid1(VALU_DEP_4)
	v_fma_f64 v[22:23], v[118:119], s[0:1], v[22:23]
	v_fma_f64 v[26:27], v[118:119], s[2:3], v[26:27]
	s_delay_alu instid0(VALU_DEP_4) | instskip(NEXT) | instid1(VALU_DEP_4)
	v_fma_f64 v[24:25], v[130:131], s[2:3], v[24:25]
	v_fma_f64 v[120:121], v[130:131], s[0:1], v[120:121]
	;; [unrolled: 3-line block ×3, first 2 shown]
	v_add_f64 v[6:7], v[30:31], v[112:113]
	v_fma_f64 v[24:25], v[28:29], s[16:17], v[24:25]
	v_fma_f64 v[28:29], v[28:29], s[16:17], v[120:121]
	v_add_f64 v[120:121], v[32:33], v[114:115]
	s_delay_alu instid0(VALU_DEP_4) | instskip(SKIP_2) | instid1(VALU_DEP_4)
	v_fma_f64 v[6:7], v[6:7], -0.5, v[14:15]
	v_add_f64 v[14:15], v[14:15], v[30:31]
	v_add_f64 v[30:31], v[38:39], -v[30:31]
	v_fma_f64 v[120:121], v[120:121], -0.5, v[16:17]
	v_add_f64 v[16:17], v[16:17], v[32:33]
	v_add_f64 v[32:33], v[40:41], -v[32:33]
	v_add_f64 v[14:15], v[14:15], v[38:39]
	v_fma_f64 v[38:39], v[118:119], s[14:15], v[6:7]
	v_fma_f64 v[6:7], v[118:119], s[8:9], v[6:7]
	v_add_f64 v[16:17], v[16:17], v[40:41]
	v_add_f64 v[40:41], v[48:49], -v[114:115]
	v_add_f64 v[14:15], v[14:15], v[46:47]
	v_add_f64 v[46:47], v[46:47], -v[112:113]
	v_fma_f64 v[6:7], v[116:117], s[2:3], v[6:7]
	v_add_f64 v[16:17], v[16:17], v[48:49]
	v_fma_f64 v[48:49], v[130:131], s[8:9], v[120:121]
	v_add_f64 v[14:15], v[14:15], v[112:113]
	;; [unrolled: 2-line block ×5, first 2 shown]
	v_add_f64 v[116:117], v[44:45], v[124:125]
	v_add_f64 v[130:131], v[44:45], -v[124:125]
	v_fma_f64 v[40:41], v[122:123], s[0:1], v[112:113]
	v_fma_f64 v[112:113], v[46:47], s[16:17], v[6:7]
	v_add_f64 v[6:7], v[34:35], -v[42:43]
	v_fma_f64 v[30:31], v[46:47], s[16:17], v[30:31]
	v_fma_f64 v[32:33], v[38:39], s[16:17], v[32:33]
	v_add_f64 v[46:47], v[36:37], -v[128:129]
	s_waitcnt lgkmcnt(0)
	v_fma_f64 v[120:121], v[116:117], -0.5, v[20:21]
	v_fma_f64 v[114:115], v[38:39], s[16:17], v[40:41]
	v_add_f64 v[38:39], v[126:127], -v[50:51]
	v_add_f64 v[40:41], v[128:129], -v[124:125]
	s_delay_alu instid0(VALU_DEP_4) | instskip(NEXT) | instid1(VALU_DEP_3)
	v_fma_f64 v[116:117], v[132:133], s[14:15], v[120:121]
	v_add_f64 v[6:7], v[6:7], v[38:39]
	v_add_f64 v[38:39], v[36:37], -v[44:45]
	s_delay_alu instid0(VALU_DEP_3) | instskip(NEXT) | instid1(VALU_DEP_2)
	v_fma_f64 v[118:119], v[134:135], s[2:3], v[116:117]
	v_add_f64 v[38:39], v[38:39], v[40:41]
	v_add_f64 v[40:41], v[42:43], v[50:51]
	s_delay_alu instid0(VALU_DEP_2) | instskip(NEXT) | instid1(VALU_DEP_2)
	v_fma_f64 v[118:119], v[38:39], s[16:17], v[118:119]
	v_fma_f64 v[40:41], v[40:41], -0.5, v[18:19]
	s_delay_alu instid0(VALU_DEP_1) | instskip(SKIP_1) | instid1(VALU_DEP_2)
	v_fma_f64 v[48:49], v[46:47], s[8:9], v[40:41]
	v_fma_f64 v[40:41], v[46:47], s[14:15], v[40:41]
	;; [unrolled: 1-line block ×3, first 2 shown]
	s_delay_alu instid0(VALU_DEP_2) | instskip(NEXT) | instid1(VALU_DEP_2)
	v_fma_f64 v[40:41], v[130:131], s[2:3], v[40:41]
	v_fma_f64 v[116:117], v[6:7], s[16:17], v[48:49]
	;; [unrolled: 1-line block ×3, first 2 shown]
	s_delay_alu instid0(VALU_DEP_3) | instskip(SKIP_1) | instid1(VALU_DEP_3)
	v_fma_f64 v[120:121], v[6:7], s[16:17], v[40:41]
	v_add_f64 v[6:7], v[34:35], v[126:127]
	v_fma_f64 v[48:49], v[134:135], s[0:1], v[48:49]
	s_delay_alu instid0(VALU_DEP_2) | instskip(SKIP_2) | instid1(VALU_DEP_4)
	v_fma_f64 v[6:7], v[6:7], -0.5, v[18:19]
	v_add_f64 v[18:19], v[18:19], v[34:35]
	v_add_f64 v[34:35], v[42:43], -v[34:35]
	v_fma_f64 v[122:123], v[38:39], s[16:17], v[48:49]
	v_add_f64 v[38:39], v[36:37], v[128:129]
	v_fma_f64 v[40:41], v[130:131], s[14:15], v[6:7]
	v_add_f64 v[18:19], v[18:19], v[42:43]
	v_fma_f64 v[6:7], v[130:131], s[8:9], v[6:7]
	v_add_f64 v[42:43], v[50:51], -v[126:127]
	v_fma_f64 v[38:39], v[38:39], -0.5, v[20:21]
	v_add_f64 v[20:21], v[20:21], v[36:37]
	v_add_f64 v[36:37], v[44:45], -v[36:37]
	v_fma_f64 v[40:41], v[46:47], s[0:1], v[40:41]
	v_add_f64 v[34:35], v[34:35], v[42:43]
	v_fma_f64 v[6:7], v[46:47], s[2:3], v[6:7]
	v_add_f64 v[18:19], v[18:19], v[50:51]
	v_add_f64 v[46:47], v[152:153], -v[156:157]
	v_fma_f64 v[48:49], v[134:135], s[8:9], v[38:39]
	v_add_f64 v[20:21], v[20:21], v[44:45]
	v_add_f64 v[44:45], v[124:125], -v[128:129]
	v_fma_f64 v[38:39], v[134:135], s[14:15], v[38:39]
	v_add_f64 v[18:19], v[18:19], v[126:127]
	v_fma_f64 v[42:43], v[132:133], s[2:3], v[48:49]
	v_add_f64 v[20:21], v[20:21], v[124:125]
	v_add_f64 v[36:37], v[36:37], v[44:45]
	v_fma_f64 v[38:39], v[132:133], s[0:1], v[38:39]
	v_fma_f64 v[124:125], v[34:35], s[16:17], v[40:41]
	ds_load_b128 v[132:135], v200 offset:1760
	ds_load_b128 v[136:139], v200 offset:2640
	v_add_f64 v[40:41], v[154:155], -v[158:159]
	v_add_f64 v[48:49], v[148:149], -v[160:161]
	s_waitcnt lgkmcnt(0)
	s_barrier
	buffer_gl0_inv
	v_add_f64 v[20:21], v[20:21], v[128:129]
	v_fma_f64 v[128:129], v[34:35], s[16:17], v[6:7]
	v_add_f64 v[6:7], v[152:153], -v[148:149]
	v_add_f64 v[34:35], v[156:157], -v[160:161]
	v_fma_f64 v[126:127], v[36:37], s[16:17], v[42:43]
	v_fma_f64 v[130:131], v[36:37], s[16:17], v[38:39]
	v_add_f64 v[36:37], v[158:159], -v[162:163]
	v_add_f64 v[38:39], v[150:151], v[162:163]
	v_add_f64 v[42:43], v[150:151], -v[162:163]
	v_add_f64 v[6:7], v[6:7], v[34:35]
	v_add_f64 v[34:35], v[154:155], -v[150:151]
	s_delay_alu instid0(VALU_DEP_4) | instskip(NEXT) | instid1(VALU_DEP_2)
	v_fma_f64 v[38:39], v[38:39], -0.5, v[134:135]
	v_add_f64 v[34:35], v[34:35], v[36:37]
	v_add_f64 v[36:37], v[148:149], v[160:161]
	s_delay_alu instid0(VALU_DEP_3) | instskip(SKIP_1) | instid1(VALU_DEP_3)
	v_fma_f64 v[50:51], v[46:47], s[8:9], v[38:39]
	v_fma_f64 v[38:39], v[46:47], s[14:15], v[38:39]
	v_fma_f64 v[36:37], v[36:37], -0.5, v[132:133]
	s_delay_alu instid0(VALU_DEP_3) | instskip(NEXT) | instid1(VALU_DEP_3)
	v_fma_f64 v[50:51], v[48:49], s[2:3], v[50:51]
	v_fma_f64 v[38:39], v[48:49], s[0:1], v[38:39]
	s_delay_alu instid0(VALU_DEP_3) | instskip(SKIP_1) | instid1(VALU_DEP_4)
	v_fma_f64 v[44:45], v[40:41], s[14:15], v[36:37]
	v_fma_f64 v[36:37], v[40:41], s[8:9], v[36:37]
	;; [unrolled: 1-line block ×3, first 2 shown]
	s_delay_alu instid0(VALU_DEP_4)
	v_fma_f64 v[146:147], v[34:35], s[16:17], v[38:39]
	v_add_f64 v[38:39], v[134:135], v[150:151]
	v_add_f64 v[34:35], v[154:155], v[158:159]
	v_add_f64 v[50:51], v[150:151], -v[154:155]
	v_fma_f64 v[44:45], v[42:43], s[0:1], v[44:45]
	v_fma_f64 v[36:37], v[42:43], s[2:3], v[36:37]
	v_add_f64 v[38:39], v[38:39], v[154:155]
	v_fma_f64 v[34:35], v[34:35], -0.5, v[134:135]
	s_delay_alu instid0(VALU_DEP_4) | instskip(NEXT) | instid1(VALU_DEP_4)
	v_fma_f64 v[140:141], v[6:7], s[16:17], v[44:45]
	v_fma_f64 v[144:145], v[6:7], s[16:17], v[36:37]
	v_add_f64 v[36:37], v[132:133], v[148:149]
	v_add_f64 v[6:7], v[152:153], v[156:157]
	;; [unrolled: 1-line block ×3, first 2 shown]
	v_add_f64 v[44:45], v[148:149], -v[152:153]
	v_add_f64 v[148:149], v[160:161], -v[156:157]
	v_add_f64 v[36:37], v[36:37], v[152:153]
	v_fma_f64 v[6:7], v[6:7], -0.5, v[132:133]
	v_add_f64 v[134:135], v[38:39], v[162:163]
	s_delay_alu instid0(VALU_DEP_4) | instskip(NEXT) | instid1(VALU_DEP_4)
	v_add_f64 v[44:45], v[44:45], v[148:149]
	v_add_f64 v[36:37], v[36:37], v[156:157]
	s_delay_alu instid0(VALU_DEP_4)
	v_fma_f64 v[38:39], v[42:43], s[8:9], v[6:7]
	v_fma_f64 v[6:7], v[42:43], s[14:15], v[6:7]
	;; [unrolled: 1-line block ×4, first 2 shown]
	v_add_f64 v[132:133], v[36:37], v[160:161]
	v_add_f64 v[36:37], v[162:163], -v[158:159]
	v_fma_f64 v[38:39], v[40:41], s[0:1], v[38:39]
	v_fma_f64 v[6:7], v[40:41], s[2:3], v[6:7]
	;; [unrolled: 1-line block ×4, first 2 shown]
	v_add_f64 v[42:43], v[110:111], -v[106:107]
	v_add_f64 v[36:37], v[50:51], v[36:37]
	v_fma_f64 v[148:149], v[44:45], s[16:17], v[38:39]
	v_fma_f64 v[152:153], v[44:45], s[16:17], v[6:7]
	v_add_f64 v[6:7], v[136:137], v[96:97]
	v_add_f64 v[38:39], v[96:97], -v[108:109]
	v_fma_f64 v[150:151], v[36:37], s[16:17], v[40:41]
	ds_store_b128 v200, v[14:17]
	ds_store_b128 v200, v[22:25] offset:880
	ds_store_b128 v200, v[30:33] offset:1760
	;; [unrolled: 1-line block ×13, first 2 shown]
	v_add_f64 v[18:19], v[98:99], v[110:111]
	v_add_f64 v[6:7], v[6:7], v[100:101]
	;; [unrolled: 1-line block ×3, first 2 shown]
	v_add_f64 v[20:21], v[104:105], -v[108:109]
	v_fma_f64 v[154:155], v[36:37], s[16:17], v[34:35]
	v_add_f64 v[32:33], v[102:103], -v[106:107]
	v_add_f64 v[36:37], v[100:101], -v[104:105]
	;; [unrolled: 1-line block ×3, first 2 shown]
	v_fma_f64 v[22:23], v[18:19], -0.5, v[138:139]
	v_add_f64 v[18:19], v[100:101], v[104:105]
	v_add_f64 v[14:15], v[14:15], v[102:103]
	;; [unrolled: 1-line block ×3, first 2 shown]
	ds_store_b128 v201, v[152:155] offset:12320
	v_fma_f64 v[26:27], v[18:19], -0.5, v[136:137]
	v_add_f64 v[18:19], v[102:103], v[106:107]
	v_add_f64 v[16:17], v[14:15], v[106:107]
	;; [unrolled: 1-line block ×4, first 2 shown]
	v_fma_f64 v[44:45], v[34:35], s[8:9], v[26:27]
	v_fma_f64 v[28:29], v[18:19], -0.5, v[138:139]
	v_add_f64 v[18:19], v[100:101], -v[96:97]
	v_fma_f64 v[26:27], v[34:35], s[14:15], v[26:27]
	v_fma_f64 v[6:7], v[6:7], -0.5, v[136:137]
	v_add_f64 v[16:17], v[16:17], v[110:111]
	s_delay_alu instid0(VALU_DEP_4) | instskip(SKIP_2) | instid1(VALU_DEP_1)
	v_add_f64 v[24:25], v[18:19], v[20:21]
	v_add_f64 v[18:19], v[102:103], -v[98:99]
	v_add_f64 v[20:21], v[106:107], -v[110:111]
	v_add_f64 v[30:31], v[18:19], v[20:21]
	v_fma_f64 v[18:19], v[32:33], s[14:15], v[6:7]
	v_fma_f64 v[20:21], v[36:37], s[8:9], v[22:23]
	;; [unrolled: 1-line block ×4, first 2 shown]
	s_delay_alu instid0(VALU_DEP_4) | instskip(NEXT) | instid1(VALU_DEP_4)
	v_fma_f64 v[18:19], v[34:35], s[0:1], v[18:19]
	v_fma_f64 v[20:21], v[38:39], s[2:3], v[20:21]
	s_delay_alu instid0(VALU_DEP_4) | instskip(NEXT) | instid1(VALU_DEP_4)
	v_fma_f64 v[6:7], v[34:35], s[2:3], v[6:7]
	v_fma_f64 v[40:41], v[38:39], s[0:1], v[22:23]
	;; [unrolled: 1-line block ×8, first 2 shown]
	v_add_f64 v[6:7], v[96:97], -v[100:101]
	v_add_f64 v[30:31], v[98:99], -v[102:103]
	;; [unrolled: 1-line block ×3, first 2 shown]
	v_fma_f64 v[34:35], v[36:37], s[2:3], v[34:35]
	v_fma_f64 v[36:37], v[36:37], s[0:1], v[28:29]
	s_delay_alu instid0(VALU_DEP_4) | instskip(NEXT) | instid1(VALU_DEP_4)
	v_add_f64 v[38:39], v[30:31], v[42:43]
	v_add_f64 v[6:7], v[6:7], v[40:41]
	v_fma_f64 v[30:31], v[32:33], s[0:1], v[44:45]
	v_fma_f64 v[32:33], v[32:33], s[2:3], v[26:27]
	s_delay_alu instid0(VALU_DEP_4) | instskip(SKIP_1) | instid1(VALU_DEP_4)
	v_fma_f64 v[28:29], v[38:39], s[16:17], v[34:35]
	v_add_f64 v[34:35], v[94:95], v[8:9]
	v_fma_f64 v[26:27], v[6:7], s[16:17], v[30:31]
	s_delay_alu instid0(VALU_DEP_4)
	v_fma_f64 v[30:31], v[6:7], s[16:17], v[32:33]
	scratch_load_b32 v6, off, off offset:912 ; 4-byte Folded Reload
	v_fma_f64 v[32:33], v[38:39], s[16:17], v[36:37]
	v_add_f64 v[36:37], v[88:89], -v[90:91]
	s_waitcnt vmcnt(0)
	ds_store_b128 v6, v[14:17] offset:13200
	ds_store_b128 v6, v[26:29] offset:14080
	;; [unrolled: 1-line block ×5, first 2 shown]
	v_add_f64 v[6:7], v[90:91], -v[88:89]
	v_add_f64 v[14:15], v[10:11], -v[12:13]
	;; [unrolled: 1-line block ×7, first 2 shown]
	v_add_f64 v[32:33], v[92:93], v[88:89]
	v_add_f64 v[6:7], v[6:7], v[14:15]
	v_add_f64 v[14:15], v[0:1], -v[8:9]
	s_delay_alu instid0(VALU_DEP_3) | instskip(NEXT) | instid1(VALU_DEP_2)
	v_add_f64 v[32:33], v[32:33], v[90:91]
	v_add_f64 v[20:21], v[14:15], v[16:17]
	;; [unrolled: 1-line block ×4, first 2 shown]
	s_delay_alu instid0(VALU_DEP_4) | instskip(NEXT) | instid1(VALU_DEP_3)
	v_add_f64 v[32:33], v[32:33], v[10:11]
	v_fma_f64 v[18:19], v[14:15], -0.5, v[92:93]
	s_delay_alu instid0(VALU_DEP_3) | instskip(NEXT) | instid1(VALU_DEP_2)
	v_fma_f64 v[26:27], v[16:17], -0.5, v[94:95]
	v_fma_f64 v[14:15], v[22:23], s[14:15], v[18:19]
	v_fma_f64 v[18:19], v[22:23], s[8:9], v[18:19]
	s_delay_alu instid0(VALU_DEP_3) | instskip(SKIP_1) | instid1(VALU_DEP_4)
	v_fma_f64 v[16:17], v[28:29], s[8:9], v[26:27]
	v_fma_f64 v[26:27], v[28:29], s[14:15], v[26:27]
	;; [unrolled: 1-line block ×3, first 2 shown]
	s_delay_alu instid0(VALU_DEP_4) | instskip(NEXT) | instid1(VALU_DEP_4)
	v_fma_f64 v[18:19], v[24:25], s[2:3], v[18:19]
	v_fma_f64 v[16:17], v[30:31], s[2:3], v[16:17]
	s_delay_alu instid0(VALU_DEP_4) | instskip(NEXT) | instid1(VALU_DEP_4)
	v_fma_f64 v[26:27], v[30:31], s[0:1], v[26:27]
	v_fma_f64 v[14:15], v[6:7], s[16:17], v[14:15]
	s_delay_alu instid0(VALU_DEP_4) | instskip(SKIP_4) | instid1(VALU_DEP_4)
	v_fma_f64 v[18:19], v[6:7], s[16:17], v[18:19]
	v_add_f64 v[6:7], v[90:91], v[10:11]
	v_fma_f64 v[16:17], v[20:21], s[16:17], v[16:17]
	v_fma_f64 v[20:21], v[20:21], s[16:17], v[26:27]
	v_add_f64 v[26:27], v[0:1], v[2:3]
	v_fma_f64 v[6:7], v[6:7], -0.5, v[92:93]
	s_delay_alu instid0(VALU_DEP_2) | instskip(NEXT) | instid1(VALU_DEP_2)
	v_fma_f64 v[26:27], v[26:27], -0.5, v[94:95]
	v_fma_f64 v[38:39], v[24:25], s[8:9], v[6:7]
	v_fma_f64 v[6:7], v[24:25], s[14:15], v[6:7]
	v_add_f64 v[24:25], v[34:35], v[0:1]
	v_add_f64 v[34:35], v[12:13], -v[10:11]
	v_add_f64 v[0:1], v[8:9], -v[0:1]
	v_fma_f64 v[8:9], v[30:31], s[8:9], v[26:27]
	v_add_f64 v[10:11], v[32:33], v[12:13]
	v_fma_f64 v[6:7], v[22:23], s[2:3], v[6:7]
	v_add_f64 v[24:25], v[24:25], v[2:3]
	v_add_f64 v[2:3], v[4:5], -v[2:3]
	v_fma_f64 v[8:9], v[28:29], s[0:1], v[8:9]
	s_delay_alu instid0(VALU_DEP_3) | instskip(SKIP_4) | instid1(VALU_DEP_4)
	v_add_f64 v[12:13], v[24:25], v[4:5]
	v_fma_f64 v[4:5], v[30:31], s[14:15], v[26:27]
	v_add_f64 v[24:25], v[36:37], v[34:35]
	v_fma_f64 v[26:27], v[22:23], s[0:1], v[38:39]
	;; [unrolled: 2-line block ×3, first 2 shown]
	s_delay_alu instid0(VALU_DEP_4) | instskip(NEXT) | instid1(VALU_DEP_4)
	v_fma_f64 v[4:5], v[24:25], s[16:17], v[6:7]
	v_fma_f64 v[0:1], v[24:25], s[16:17], v[26:27]
	s_delay_alu instid0(VALU_DEP_4)
	v_fma_f64 v[6:7], v[22:23], s[16:17], v[8:9]
	scratch_load_b32 v8, off, off offset:908 ; 4-byte Folded Reload
	v_fma_f64 v[2:3], v[22:23], s[16:17], v[2:3]
	s_waitcnt vmcnt(0)
	ds_store_b128 v8, v[10:13] offset:17600
	ds_store_b128 v8, v[0:3] offset:18480
	;; [unrolled: 1-line block ×5, first 2 shown]
	s_waitcnt lgkmcnt(0)
	s_barrier
	buffer_gl0_inv
	ds_load_b128 v[4:7], v200 offset:8800
	ds_load_b128 v[0:3], v200 offset:9680
	s_waitcnt lgkmcnt(1)
	v_mul_f64 v[8:9], v[86:87], v[6:7]
	s_delay_alu instid0(VALU_DEP_1) | instskip(SKIP_1) | instid1(VALU_DEP_1)
	v_fma_f64 v[14:15], v[84:85], v[4:5], v[8:9]
	v_mul_f64 v[4:5], v[86:87], v[4:5]
	v_fma_f64 v[12:13], v[84:85], v[6:7], -v[4:5]
	ds_load_b128 v[8:11], v200 offset:13200
	ds_load_b128 v[4:7], v200 offset:12320
	s_waitcnt lgkmcnt(1)
	v_mul_f64 v[16:17], v[82:83], v[10:11]
	s_delay_alu instid0(VALU_DEP_1) | instskip(SKIP_1) | instid1(VALU_DEP_1)
	v_fma_f64 v[84:85], v[80:81], v[8:9], v[16:17]
	v_mul_f64 v[8:9], v[82:83], v[8:9]
	v_fma_f64 v[80:81], v[80:81], v[10:11], -v[8:9]
	ds_load_b128 v[8:11], v200 offset:4400
	ds_load_b128 v[16:19], v200 offset:3520
	scratch_load_b128 v[22:25], off, off offset:700 ; 16-byte Folded Reload
	s_waitcnt vmcnt(0) lgkmcnt(1)
	v_mul_f64 v[20:21], v[24:25], v[10:11]
	s_delay_alu instid0(VALU_DEP_1) | instskip(SKIP_1) | instid1(VALU_DEP_1)
	v_fma_f64 v[28:29], v[22:23], v[8:9], v[20:21]
	v_mul_f64 v[8:9], v[24:25], v[8:9]
	v_fma_f64 v[30:31], v[22:23], v[10:11], -v[8:9]
	ds_load_b128 v[8:11], v200 offset:17600
	ds_load_b128 v[20:23], v200 offset:18480
	scratch_load_b128 v[34:37], off, off offset:736 ; 16-byte Folded Reload
	s_waitcnt vmcnt(0) lgkmcnt(1)
	v_mul_f64 v[24:25], v[36:37], v[10:11]
	s_delay_alu instid0(VALU_DEP_1) | instskip(SKIP_1) | instid1(VALU_DEP_1)
	v_fma_f64 v[32:33], v[34:35], v[8:9], v[24:25]
	v_mul_f64 v[8:9], v[36:37], v[8:9]
	v_fma_f64 v[34:35], v[34:35], v[10:11], -v[8:9]
	ds_load_b128 v[8:11], v200 offset:5280
	ds_load_b128 v[24:27], v200 offset:6160
	s_clause 0x1
	scratch_load_b128 v[38:41], off, off offset:1156
	scratch_load_b128 v[42:45], off, off offset:1172
	s_waitcnt vmcnt(1) lgkmcnt(1)
	v_mul_f64 v[36:37], v[40:41], v[10:11]
	s_delay_alu instid0(VALU_DEP_1) | instskip(SKIP_1) | instid1(VALU_DEP_1)
	v_fma_f64 v[36:37], v[38:39], v[8:9], v[36:37]
	v_mul_f64 v[8:9], v[40:41], v[8:9]
	v_fma_f64 v[38:39], v[38:39], v[10:11], -v[8:9]
	s_waitcnt vmcnt(0)
	v_mul_f64 v[8:9], v[44:45], v[2:3]
	s_delay_alu instid0(VALU_DEP_1) | instskip(SKIP_1) | instid1(VALU_DEP_1)
	v_fma_f64 v[40:41], v[42:43], v[0:1], v[8:9]
	v_mul_f64 v[0:1], v[44:45], v[0:1]
	v_fma_f64 v[42:43], v[42:43], v[2:3], -v[0:1]
	ds_load_b128 v[0:3], v200 offset:14080
	ds_load_b128 v[8:11], v200 offset:14960
	s_clause 0x1
	scratch_load_b128 v[46:49], off, off offset:1140
	scratch_load_b128 v[86:89], off, off offset:1108
	s_waitcnt vmcnt(1) lgkmcnt(1)
	v_mul_f64 v[44:45], v[48:49], v[2:3]
	s_delay_alu instid0(VALU_DEP_1) | instskip(SKIP_1) | instid1(VALU_DEP_1)
	v_fma_f64 v[44:45], v[46:47], v[0:1], v[44:45]
	v_mul_f64 v[0:1], v[48:49], v[0:1]
	v_fma_f64 v[46:47], v[46:47], v[2:3], -v[0:1]
	s_waitcnt vmcnt(0)
	v_mul_f64 v[0:1], v[88:89], v[22:23]
	s_delay_alu instid0(VALU_DEP_1) | instskip(SKIP_1) | instid1(VALU_DEP_1)
	v_fma_f64 v[48:49], v[86:87], v[20:21], v[0:1]
	v_mul_f64 v[0:1], v[88:89], v[20:21]
	v_fma_f64 v[50:51], v[86:87], v[22:23], -v[0:1]
	scratch_load_b128 v[20:23], off, off offset:1220 ; 16-byte Folded Reload
	s_waitcnt vmcnt(0)
	v_mul_f64 v[0:1], v[22:23], v[26:27]
	s_delay_alu instid0(VALU_DEP_1) | instskip(SKIP_1) | instid1(VALU_DEP_1)
	v_fma_f64 v[82:83], v[20:21], v[24:25], v[0:1]
	v_mul_f64 v[0:1], v[22:23], v[24:25]
	v_fma_f64 v[86:87], v[20:21], v[26:27], -v[0:1]
	ds_load_b128 v[0:3], v200 offset:10560
	ds_load_b128 v[20:23], v200 offset:11440
	scratch_load_b128 v[90:93], off, off offset:1236 ; 16-byte Folded Reload
	s_waitcnt vmcnt(0) lgkmcnt(1)
	v_mul_f64 v[24:25], v[92:93], v[2:3]
	s_delay_alu instid0(VALU_DEP_1) | instskip(SKIP_2) | instid1(VALU_DEP_1)
	v_fma_f64 v[88:89], v[90:91], v[0:1], v[24:25]
	scratch_load_b128 v[24:27], off, off offset:1188 ; 16-byte Folded Reload
	v_mul_f64 v[0:1], v[92:93], v[0:1]
	v_fma_f64 v[90:91], v[90:91], v[2:3], -v[0:1]
	s_waitcnt vmcnt(0)
	v_mul_f64 v[0:1], v[26:27], v[10:11]
	s_delay_alu instid0(VALU_DEP_1) | instskip(SKIP_1) | instid1(VALU_DEP_1)
	v_fma_f64 v[92:93], v[24:25], v[8:9], v[0:1]
	v_mul_f64 v[0:1], v[26:27], v[8:9]
	v_fma_f64 v[94:95], v[24:25], v[10:11], -v[0:1]
	ds_load_b128 v[0:3], v200 offset:19360
	ds_load_b128 v[8:11], v200 offset:20240
	scratch_load_b128 v[98:101], off, off offset:1124 ; 16-byte Folded Reload
	s_waitcnt vmcnt(0) lgkmcnt(1)
	v_mul_f64 v[24:25], v[100:101], v[2:3]
	s_delay_alu instid0(VALU_DEP_1) | instskip(SKIP_1) | instid1(VALU_DEP_1)
	v_fma_f64 v[96:97], v[98:99], v[0:1], v[24:25]
	v_mul_f64 v[0:1], v[100:101], v[0:1]
	v_fma_f64 v[98:99], v[98:99], v[2:3], -v[0:1]
	ds_load_b128 v[0:3], v200 offset:7040
	ds_load_b128 v[24:27], v200 offset:7920
	s_waitcnt lgkmcnt(1)
	v_mul_f64 v[100:101], v[58:59], v[2:3]
	s_delay_alu instid0(VALU_DEP_1) | instskip(SKIP_2) | instid1(VALU_DEP_2)
	v_fma_f64 v[100:101], v[56:57], v[0:1], v[100:101]
	v_mul_f64 v[0:1], v[58:59], v[0:1]
	v_add_f64 v[58:59], v[14:15], -v[84:85]
	v_fma_f64 v[102:103], v[56:57], v[2:3], -v[0:1]
	v_mul_f64 v[0:1], v[66:67], v[22:23]
	s_delay_alu instid0(VALU_DEP_1) | instskip(SKIP_2) | instid1(VALU_DEP_2)
	v_fma_f64 v[104:105], v[64:65], v[20:21], v[0:1]
	v_mul_f64 v[0:1], v[66:67], v[20:21]
	v_add_f64 v[66:67], v[90:91], -v[94:95]
	v_fma_f64 v[106:107], v[64:65], v[22:23], -v[0:1]
	ds_load_b128 v[0:3], v200 offset:15840
	ds_load_b128 v[20:23], v200 offset:16720
	v_add_f64 v[64:65], v[86:87], -v[98:99]
	s_waitcnt lgkmcnt(1)
	v_mul_f64 v[56:57], v[54:55], v[2:3]
	s_delay_alu instid0(VALU_DEP_1) | instskip(SKIP_2) | instid1(VALU_DEP_2)
	v_fma_f64 v[108:109], v[52:53], v[0:1], v[56:57]
	v_mul_f64 v[0:1], v[54:55], v[0:1]
	v_add_f64 v[56:57], v[28:29], -v[32:33]
	v_fma_f64 v[110:111], v[52:53], v[2:3], -v[0:1]
	scratch_load_b128 v[52:55], off, off offset:1204 ; 16-byte Folded Reload
	s_waitcnt vmcnt(0)
	v_mul_f64 v[0:1], v[54:55], v[10:11]
	s_delay_alu instid0(VALU_DEP_1) | instskip(SKIP_3) | instid1(VALU_DEP_3)
	v_fma_f64 v[112:113], v[52:53], v[8:9], v[0:1]
	v_mul_f64 v[0:1], v[54:55], v[8:9]
	v_add_f64 v[8:9], v[14:15], v[84:85]
	v_add_f64 v[54:55], v[12:13], -v[80:81]
	v_fma_f64 v[114:115], v[52:53], v[10:11], -v[0:1]
	v_mul_f64 v[0:1], v[74:75], v[26:27]
	v_add_f64 v[52:53], v[30:31], -v[34:35]
	s_delay_alu instid0(VALU_DEP_2) | instskip(SKIP_1) | instid1(VALU_DEP_1)
	v_fma_f64 v[116:117], v[72:73], v[24:25], v[0:1]
	v_mul_f64 v[0:1], v[74:75], v[24:25]
	v_fma_f64 v[118:119], v[72:73], v[26:27], -v[0:1]
	v_mul_f64 v[0:1], v[78:79], v[6:7]
	v_add_f64 v[72:73], v[88:89], -v[82:83]
	s_delay_alu instid0(VALU_DEP_2) | instskip(SKIP_2) | instid1(VALU_DEP_2)
	v_fma_f64 v[120:121], v[76:77], v[4:5], v[0:1]
	v_mul_f64 v[0:1], v[78:79], v[4:5]
	v_add_f64 v[78:79], v[94:95], -v[98:99]
	v_fma_f64 v[122:123], v[76:77], v[6:7], -v[0:1]
	s_waitcnt lgkmcnt(0)
	v_mul_f64 v[0:1], v[70:71], v[22:23]
	v_add_f64 v[76:77], v[92:93], -v[96:97]
	s_delay_alu instid0(VALU_DEP_2) | instskip(SKIP_2) | instid1(VALU_DEP_2)
	v_fma_f64 v[124:125], v[68:69], v[20:21], v[0:1]
	v_mul_f64 v[0:1], v[70:71], v[20:21]
	v_add_f64 v[70:71], v[88:89], -v[92:93]
	v_fma_f64 v[126:127], v[68:69], v[22:23], -v[0:1]
	ds_load_b128 v[0:3], v200 offset:21120
	v_add_f64 v[68:69], v[82:83], -v[96:97]
	s_waitcnt lgkmcnt(0)
	v_mul_f64 v[4:5], v[62:63], v[2:3]
	s_delay_alu instid0(VALU_DEP_1) | instskip(SKIP_2) | instid1(VALU_DEP_2)
	v_fma_f64 v[128:129], v[60:61], v[0:1], v[4:5]
	v_mul_f64 v[0:1], v[62:63], v[0:1]
	v_add_f64 v[62:63], v[40:41], -v[44:45]
	v_fma_f64 v[130:131], v[60:61], v[2:3], -v[0:1]
	v_add_f64 v[0:1], v[28:29], -v[14:15]
	v_add_f64 v[2:3], v[32:33], -v[84:85]
	v_add_f64 v[60:61], v[36:37], -v[48:49]
	s_delay_alu instid0(VALU_DEP_2) | instskip(SKIP_2) | instid1(VALU_DEP_1)
	v_add_f64 v[20:21], v[0:1], v[2:3]
	v_add_f64 v[0:1], v[30:31], -v[12:13]
	v_add_f64 v[2:3], v[34:35], -v[80:81]
	v_add_f64 v[22:23], v[0:1], v[2:3]
	ds_load_b128 v[0:3], v200
	ds_load_b128 v[4:7], v200 offset:880
	s_waitcnt lgkmcnt(1)
	v_fma_f64 v[24:25], v[8:9], -0.5, v[0:1]
	v_add_f64 v[8:9], v[12:13], v[80:81]
	s_delay_alu instid0(VALU_DEP_1) | instskip(NEXT) | instid1(VALU_DEP_3)
	v_fma_f64 v[26:27], v[8:9], -0.5, v[2:3]
	v_fma_f64 v[8:9], v[52:53], s[8:9], v[24:25]
	v_fma_f64 v[24:25], v[52:53], s[14:15], v[24:25]
	s_delay_alu instid0(VALU_DEP_3) | instskip(SKIP_1) | instid1(VALU_DEP_4)
	v_fma_f64 v[10:11], v[56:57], s[14:15], v[26:27]
	v_fma_f64 v[26:27], v[56:57], s[8:9], v[26:27]
	;; [unrolled: 1-line block ×3, first 2 shown]
	s_delay_alu instid0(VALU_DEP_4) | instskip(NEXT) | instid1(VALU_DEP_4)
	v_fma_f64 v[24:25], v[54:55], s[2:3], v[24:25]
	v_fma_f64 v[10:11], v[58:59], s[2:3], v[10:11]
	s_delay_alu instid0(VALU_DEP_4) | instskip(NEXT) | instid1(VALU_DEP_4)
	v_fma_f64 v[26:27], v[58:59], s[0:1], v[26:27]
	v_fma_f64 v[8:9], v[20:21], s[16:17], v[8:9]
	s_delay_alu instid0(VALU_DEP_4) | instskip(SKIP_4) | instid1(VALU_DEP_4)
	v_fma_f64 v[20:21], v[20:21], s[16:17], v[24:25]
	v_add_f64 v[24:25], v[28:29], v[32:33]
	v_fma_f64 v[10:11], v[22:23], s[16:17], v[10:11]
	v_fma_f64 v[22:23], v[22:23], s[16:17], v[26:27]
	v_add_f64 v[26:27], v[30:31], v[34:35]
	v_fma_f64 v[24:25], v[24:25], -0.5, v[0:1]
	v_add_f64 v[0:1], v[0:1], v[28:29]
	s_delay_alu instid0(VALU_DEP_3) | instskip(SKIP_1) | instid1(VALU_DEP_3)
	v_fma_f64 v[26:27], v[26:27], -0.5, v[2:3]
	v_add_f64 v[2:3], v[2:3], v[30:31]
	v_add_f64 v[0:1], v[0:1], v[14:15]
	v_add_f64 v[14:15], v[14:15], -v[28:29]
	v_fma_f64 v[28:29], v[54:55], s[14:15], v[24:25]
	v_fma_f64 v[24:25], v[54:55], s[8:9], v[24:25]
	v_add_f64 v[2:3], v[2:3], v[12:13]
	v_add_f64 v[12:13], v[12:13], -v[30:31]
	v_add_f64 v[0:1], v[0:1], v[84:85]
	v_add_f64 v[30:31], v[84:85], -v[32:33]
	v_add_f64 v[84:85], v[100:101], -v[112:113]
	v_fma_f64 v[24:25], v[52:53], s[2:3], v[24:25]
	v_add_f64 v[2:3], v[2:3], v[80:81]
	v_add_f64 v[0:1], v[0:1], v[32:33]
	v_add_f64 v[32:33], v[80:81], -v[34:35]
	v_add_f64 v[30:31], v[14:15], v[30:31]
	v_fma_f64 v[14:15], v[52:53], s[0:1], v[28:29]
	v_add_f64 v[2:3], v[2:3], v[34:35]
	v_fma_f64 v[34:35], v[58:59], s[8:9], v[26:27]
	v_fma_f64 v[26:27], v[58:59], s[14:15], v[26:27]
	v_add_f64 v[28:29], v[12:13], v[32:33]
	v_fma_f64 v[24:25], v[30:31], s[16:17], v[24:25]
	v_fma_f64 v[12:13], v[30:31], s[16:17], v[14:15]
	v_add_f64 v[30:31], v[48:49], -v[44:45]
	v_add_f64 v[58:59], v[42:43], -v[46:47]
	v_fma_f64 v[32:33], v[56:57], s[2:3], v[34:35]
	v_fma_f64 v[26:27], v[56:57], s[0:1], v[26:27]
	v_add_f64 v[56:57], v[38:39], -v[50:51]
	s_delay_alu instid0(VALU_DEP_3) | instskip(NEXT) | instid1(VALU_DEP_3)
	v_fma_f64 v[14:15], v[28:29], s[16:17], v[32:33]
	v_fma_f64 v[26:27], v[28:29], s[16:17], v[26:27]
	v_add_f64 v[28:29], v[36:37], -v[40:41]
	s_delay_alu instid0(VALU_DEP_1) | instskip(SKIP_2) | instid1(VALU_DEP_1)
	v_add_f64 v[32:33], v[28:29], v[30:31]
	v_add_f64 v[28:29], v[38:39], -v[42:43]
	v_add_f64 v[30:31], v[50:51], -v[46:47]
	v_add_f64 v[34:35], v[28:29], v[30:31]
	v_add_f64 v[28:29], v[40:41], v[44:45]
	s_waitcnt lgkmcnt(0)
	s_delay_alu instid0(VALU_DEP_1) | instskip(SKIP_1) | instid1(VALU_DEP_1)
	v_fma_f64 v[52:53], v[28:29], -0.5, v[4:5]
	v_add_f64 v[28:29], v[42:43], v[46:47]
	v_fma_f64 v[54:55], v[28:29], -0.5, v[6:7]
	s_delay_alu instid0(VALU_DEP_3) | instskip(SKIP_1) | instid1(VALU_DEP_3)
	v_fma_f64 v[28:29], v[56:57], s[8:9], v[52:53]
	v_fma_f64 v[52:53], v[56:57], s[14:15], v[52:53]
	;; [unrolled: 1-line block ×3, first 2 shown]
	s_delay_alu instid0(VALU_DEP_3) | instskip(SKIP_1) | instid1(VALU_DEP_4)
	v_fma_f64 v[28:29], v[58:59], s[0:1], v[28:29]
	v_fma_f64 v[54:55], v[60:61], s[8:9], v[54:55]
	;; [unrolled: 1-line block ×3, first 2 shown]
	s_delay_alu instid0(VALU_DEP_4) | instskip(NEXT) | instid1(VALU_DEP_4)
	v_fma_f64 v[30:31], v[62:63], s[2:3], v[30:31]
	v_fma_f64 v[28:29], v[32:33], s[16:17], v[28:29]
	s_delay_alu instid0(VALU_DEP_4) | instskip(NEXT) | instid1(VALU_DEP_4)
	v_fma_f64 v[54:55], v[62:63], s[0:1], v[54:55]
	v_fma_f64 v[32:33], v[32:33], s[16:17], v[52:53]
	v_add_f64 v[52:53], v[36:37], v[48:49]
	v_fma_f64 v[30:31], v[34:35], s[16:17], v[30:31]
	s_delay_alu instid0(VALU_DEP_4) | instskip(SKIP_1) | instid1(VALU_DEP_4)
	v_fma_f64 v[34:35], v[34:35], s[16:17], v[54:55]
	v_add_f64 v[54:55], v[38:39], v[50:51]
	v_fma_f64 v[52:53], v[52:53], -0.5, v[4:5]
	v_add_f64 v[4:5], v[4:5], v[36:37]
	v_add_f64 v[36:37], v[40:41], -v[36:37]
	s_delay_alu instid0(VALU_DEP_4) | instskip(SKIP_1) | instid1(VALU_DEP_4)
	v_fma_f64 v[54:55], v[54:55], -0.5, v[6:7]
	v_add_f64 v[6:7], v[6:7], v[38:39]
	v_add_f64 v[4:5], v[4:5], v[40:41]
	v_fma_f64 v[40:41], v[58:59], s[14:15], v[52:53]
	v_fma_f64 v[52:53], v[58:59], s[8:9], v[52:53]
	v_add_f64 v[38:39], v[42:43], -v[38:39]
	v_add_f64 v[6:7], v[6:7], v[42:43]
	v_add_f64 v[4:5], v[4:5], v[44:45]
	v_add_f64 v[42:43], v[44:45], -v[48:49]
	v_add_f64 v[44:45], v[46:47], -v[50:51]
	s_delay_alu instid0(VALU_DEP_4) | instskip(NEXT) | instid1(VALU_DEP_4)
	v_add_f64 v[6:7], v[6:7], v[46:47]
	v_add_f64 v[4:5], v[4:5], v[48:49]
	v_fma_f64 v[46:47], v[62:63], s[8:9], v[54:55]
	v_fma_f64 v[48:49], v[62:63], s[14:15], v[54:55]
	v_add_f64 v[42:43], v[36:37], v[42:43]
	v_fma_f64 v[36:37], v[56:57], s[0:1], v[40:41]
	v_fma_f64 v[40:41], v[56:57], s[2:3], v[52:53]
	v_add_f64 v[44:45], v[38:39], v[44:45]
	v_add_f64 v[52:53], v[88:89], v[92:93]
	;; [unrolled: 1-line block ×3, first 2 shown]
	v_fma_f64 v[38:39], v[60:61], s[2:3], v[46:47]
	v_fma_f64 v[46:47], v[60:61], s[0:1], v[48:49]
	v_fma_f64 v[36:37], v[42:43], s[16:17], v[36:37]
	v_fma_f64 v[40:41], v[42:43], s[16:17], v[40:41]
	s_delay_alu instid0(VALU_DEP_4) | instskip(NEXT) | instid1(VALU_DEP_4)
	v_fma_f64 v[38:39], v[44:45], s[16:17], v[38:39]
	v_fma_f64 v[42:43], v[44:45], s[16:17], v[46:47]
	v_add_f64 v[44:45], v[82:83], -v[88:89]
	v_add_f64 v[46:47], v[96:97], -v[92:93]
	s_delay_alu instid0(VALU_DEP_1) | instskip(SKIP_2) | instid1(VALU_DEP_1)
	v_add_f64 v[56:57], v[44:45], v[46:47]
	v_add_f64 v[44:45], v[86:87], -v[90:91]
	v_add_f64 v[46:47], v[98:99], -v[94:95]
	v_add_f64 v[58:59], v[44:45], v[46:47]
	ds_load_b128 v[44:47], v200 offset:1760
	ds_load_b128 v[48:51], v200 offset:2640
	s_waitcnt lgkmcnt(1)
	v_fma_f64 v[60:61], v[52:53], -0.5, v[44:45]
	v_add_f64 v[52:53], v[90:91], v[94:95]
	s_delay_alu instid0(VALU_DEP_1) | instskip(NEXT) | instid1(VALU_DEP_3)
	v_fma_f64 v[62:63], v[52:53], -0.5, v[46:47]
	v_fma_f64 v[52:53], v[64:65], s[8:9], v[60:61]
	v_fma_f64 v[60:61], v[64:65], s[14:15], v[60:61]
	s_delay_alu instid0(VALU_DEP_3) | instskip(SKIP_1) | instid1(VALU_DEP_4)
	v_fma_f64 v[54:55], v[68:69], s[14:15], v[62:63]
	v_fma_f64 v[62:63], v[68:69], s[8:9], v[62:63]
	;; [unrolled: 1-line block ×3, first 2 shown]
	s_delay_alu instid0(VALU_DEP_4) | instskip(NEXT) | instid1(VALU_DEP_4)
	v_fma_f64 v[60:61], v[66:67], s[2:3], v[60:61]
	v_fma_f64 v[54:55], v[70:71], s[2:3], v[54:55]
	s_delay_alu instid0(VALU_DEP_4) | instskip(NEXT) | instid1(VALU_DEP_4)
	v_fma_f64 v[62:63], v[70:71], s[0:1], v[62:63]
	v_fma_f64 v[52:53], v[56:57], s[16:17], v[52:53]
	s_delay_alu instid0(VALU_DEP_4) | instskip(SKIP_4) | instid1(VALU_DEP_4)
	v_fma_f64 v[56:57], v[56:57], s[16:17], v[60:61]
	v_add_f64 v[60:61], v[82:83], v[96:97]
	v_fma_f64 v[54:55], v[58:59], s[16:17], v[54:55]
	v_fma_f64 v[58:59], v[58:59], s[16:17], v[62:63]
	v_add_f64 v[62:63], v[86:87], v[98:99]
	v_fma_f64 v[60:61], v[60:61], -0.5, v[44:45]
	v_add_f64 v[44:45], v[44:45], v[82:83]
	v_add_f64 v[82:83], v[106:107], -v[110:111]
	s_delay_alu instid0(VALU_DEP_4)
	v_fma_f64 v[62:63], v[62:63], -0.5, v[46:47]
	v_add_f64 v[46:47], v[46:47], v[86:87]
	v_fma_f64 v[74:75], v[66:67], s[14:15], v[60:61]
	v_fma_f64 v[60:61], v[66:67], s[8:9], v[60:61]
	v_add_f64 v[66:67], v[90:91], -v[86:87]
	v_add_f64 v[86:87], v[104:105], -v[108:109]
	v_add_f64 v[44:45], v[44:45], v[88:89]
	v_add_f64 v[88:89], v[104:105], -v[100:101]
	v_fma_f64 v[80:81], v[70:71], s[8:9], v[62:63]
	v_fma_f64 v[62:63], v[70:71], s[14:15], v[62:63]
	v_add_f64 v[70:71], v[72:73], v[76:77]
	v_fma_f64 v[72:73], v[64:65], s[0:1], v[74:75]
	v_fma_f64 v[64:65], v[64:65], s[2:3], v[60:61]
	v_add_f64 v[66:67], v[66:67], v[78:79]
	v_add_f64 v[46:47], v[46:47], v[90:91]
	;; [unrolled: 1-line block ×3, first 2 shown]
	v_add_f64 v[92:93], v[108:109], -v[112:113]
	v_fma_f64 v[74:75], v[68:69], s[2:3], v[80:81]
	v_fma_f64 v[68:69], v[68:69], s[0:1], v[62:63]
	v_add_f64 v[80:81], v[102:103], -v[114:115]
	v_fma_f64 v[60:61], v[70:71], s[16:17], v[72:73]
	v_fma_f64 v[64:65], v[70:71], s[16:17], v[64:65]
	v_add_f64 v[70:71], v[112:113], -v[108:109]
	v_add_f64 v[46:47], v[46:47], v[94:95]
	v_add_f64 v[44:45], v[44:45], v[96:97]
	v_add_f64 v[94:95], v[110:111], -v[114:115]
	v_fma_f64 v[62:63], v[66:67], s[16:17], v[74:75]
	v_fma_f64 v[66:67], v[66:67], s[16:17], v[68:69]
	v_add_f64 v[68:69], v[100:101], -v[104:105]
	v_add_f64 v[46:47], v[46:47], v[98:99]
	v_add_f64 v[98:99], v[118:119], -v[130:131]
	s_delay_alu instid0(VALU_DEP_3) | instskip(SKIP_2) | instid1(VALU_DEP_1)
	v_add_f64 v[72:73], v[68:69], v[70:71]
	v_add_f64 v[68:69], v[102:103], -v[106:107]
	v_add_f64 v[70:71], v[114:115], -v[110:111]
	v_add_f64 v[74:75], v[68:69], v[70:71]
	v_add_f64 v[68:69], v[104:105], v[108:109]
	s_waitcnt lgkmcnt(0)
	s_delay_alu instid0(VALU_DEP_1) | instskip(SKIP_1) | instid1(VALU_DEP_1)
	v_fma_f64 v[76:77], v[68:69], -0.5, v[48:49]
	v_add_f64 v[68:69], v[106:107], v[110:111]
	v_fma_f64 v[78:79], v[68:69], -0.5, v[50:51]
	s_delay_alu instid0(VALU_DEP_3) | instskip(SKIP_1) | instid1(VALU_DEP_3)
	v_fma_f64 v[68:69], v[80:81], s[8:9], v[76:77]
	v_fma_f64 v[76:77], v[80:81], s[14:15], v[76:77]
	;; [unrolled: 1-line block ×4, first 2 shown]
	s_delay_alu instid0(VALU_DEP_4) | instskip(NEXT) | instid1(VALU_DEP_4)
	v_fma_f64 v[68:69], v[82:83], s[0:1], v[68:69]
	v_fma_f64 v[76:77], v[82:83], s[2:3], v[76:77]
	s_delay_alu instid0(VALU_DEP_4) | instskip(NEXT) | instid1(VALU_DEP_4)
	v_fma_f64 v[70:71], v[86:87], s[2:3], v[70:71]
	v_fma_f64 v[78:79], v[86:87], s[0:1], v[78:79]
	;; [unrolled: 3-line block ×3, first 2 shown]
	v_add_f64 v[76:77], v[100:101], v[112:113]
	v_fma_f64 v[70:71], v[74:75], s[16:17], v[70:71]
	v_fma_f64 v[74:75], v[74:75], s[16:17], v[78:79]
	v_add_f64 v[78:79], v[102:103], v[114:115]
	s_delay_alu instid0(VALU_DEP_4) | instskip(SKIP_2) | instid1(VALU_DEP_4)
	v_fma_f64 v[76:77], v[76:77], -0.5, v[48:49]
	v_add_f64 v[48:49], v[48:49], v[100:101]
	v_add_f64 v[100:101], v[120:121], -v[124:125]
	v_fma_f64 v[78:79], v[78:79], -0.5, v[50:51]
	v_add_f64 v[50:51], v[50:51], v[102:103]
	v_fma_f64 v[90:91], v[82:83], s[14:15], v[76:77]
	v_fma_f64 v[76:77], v[82:83], s[8:9], v[76:77]
	v_add_f64 v[82:83], v[106:107], -v[102:103]
	v_add_f64 v[102:103], v[116:117], -v[128:129]
	v_add_f64 v[48:49], v[48:49], v[104:105]
	v_add_f64 v[104:105], v[116:117], -v[120:121]
	v_fma_f64 v[96:97], v[86:87], s[8:9], v[78:79]
	v_fma_f64 v[78:79], v[86:87], s[14:15], v[78:79]
	v_add_f64 v[86:87], v[88:89], v[92:93]
	v_fma_f64 v[88:89], v[80:81], s[0:1], v[90:91]
	v_fma_f64 v[80:81], v[80:81], s[2:3], v[76:77]
	v_add_f64 v[82:83], v[82:83], v[94:95]
	v_add_f64 v[50:51], v[50:51], v[106:107]
	;; [unrolled: 1-line block ×3, first 2 shown]
	v_add_f64 v[108:109], v[128:129], -v[124:125]
	v_fma_f64 v[90:91], v[84:85], s[2:3], v[96:97]
	v_fma_f64 v[84:85], v[84:85], s[0:1], v[78:79]
	v_add_f64 v[96:97], v[122:123], -v[126:127]
	v_fma_f64 v[76:77], v[86:87], s[16:17], v[88:89]
	v_fma_f64 v[80:81], v[86:87], s[16:17], v[80:81]
	v_add_f64 v[86:87], v[124:125], -v[128:129]
	v_add_f64 v[50:51], v[50:51], v[110:111]
	v_add_f64 v[48:49], v[48:49], v[112:113]
	v_add_f64 v[110:111], v[130:131], -v[126:127]
	v_fma_f64 v[78:79], v[82:83], s[16:17], v[90:91]
	v_fma_f64 v[82:83], v[82:83], s[16:17], v[84:85]
	v_add_f64 v[84:85], v[120:121], -v[116:117]
	v_add_f64 v[50:51], v[50:51], v[114:115]
	s_delay_alu instid0(VALU_DEP_2) | instskip(SKIP_2) | instid1(VALU_DEP_1)
	v_add_f64 v[88:89], v[84:85], v[86:87]
	v_add_f64 v[84:85], v[122:123], -v[118:119]
	v_add_f64 v[86:87], v[126:127], -v[130:131]
	v_add_f64 v[90:91], v[84:85], v[86:87]
	v_add_f64 v[84:85], v[116:117], v[128:129]
	s_delay_alu instid0(VALU_DEP_1) | instskip(SKIP_1) | instid1(VALU_DEP_1)
	v_fma_f64 v[92:93], v[84:85], -0.5, v[16:17]
	v_add_f64 v[84:85], v[118:119], v[130:131]
	v_fma_f64 v[94:95], v[84:85], -0.5, v[18:19]
	s_delay_alu instid0(VALU_DEP_3) | instskip(SKIP_1) | instid1(VALU_DEP_3)
	v_fma_f64 v[84:85], v[96:97], s[14:15], v[92:93]
	v_fma_f64 v[92:93], v[96:97], s[8:9], v[92:93]
	;; [unrolled: 1-line block ×4, first 2 shown]
	s_delay_alu instid0(VALU_DEP_4) | instskip(NEXT) | instid1(VALU_DEP_4)
	v_fma_f64 v[84:85], v[98:99], s[0:1], v[84:85]
	v_fma_f64 v[92:93], v[98:99], s[2:3], v[92:93]
	s_delay_alu instid0(VALU_DEP_4) | instskip(NEXT) | instid1(VALU_DEP_4)
	v_fma_f64 v[86:87], v[102:103], s[2:3], v[86:87]
	v_fma_f64 v[94:95], v[102:103], s[0:1], v[94:95]
	;; [unrolled: 3-line block ×3, first 2 shown]
	v_add_f64 v[92:93], v[120:121], v[124:125]
	v_fma_f64 v[86:87], v[90:91], s[16:17], v[86:87]
	v_fma_f64 v[90:91], v[90:91], s[16:17], v[94:95]
	v_add_f64 v[94:95], v[122:123], v[126:127]
	s_delay_alu instid0(VALU_DEP_4) | instskip(SKIP_1) | instid1(VALU_DEP_3)
	v_fma_f64 v[92:93], v[92:93], -0.5, v[16:17]
	v_add_f64 v[16:17], v[16:17], v[116:117]
	v_fma_f64 v[94:95], v[94:95], -0.5, v[18:19]
	v_add_f64 v[18:19], v[18:19], v[118:119]
	s_delay_alu instid0(VALU_DEP_4) | instskip(NEXT) | instid1(VALU_DEP_4)
	v_fma_f64 v[106:107], v[98:99], s[8:9], v[92:93]
	v_add_f64 v[16:17], v[16:17], v[120:121]
	v_fma_f64 v[92:93], v[98:99], s[14:15], v[92:93]
	v_add_f64 v[98:99], v[118:119], -v[122:123]
	v_fma_f64 v[112:113], v[102:103], s[14:15], v[94:95]
	v_add_f64 v[18:19], v[18:19], v[122:123]
	v_fma_f64 v[94:95], v[102:103], s[8:9], v[94:95]
	v_add_f64 v[16:17], v[16:17], v[124:125]
	v_add_f64 v[102:103], v[104:105], v[108:109]
	v_fma_f64 v[104:105], v[96:97], s[0:1], v[106:107]
	v_add_f64 v[98:99], v[98:99], v[110:111]
	v_fma_f64 v[96:97], v[96:97], s[2:3], v[92:93]
	v_fma_f64 v[106:107], v[100:101], s[2:3], v[112:113]
	v_add_f64 v[18:19], v[18:19], v[126:127]
	v_fma_f64 v[100:101], v[100:101], s[0:1], v[94:95]
	v_add_f64 v[16:17], v[16:17], v[128:129]
	s_mov_b32 s2, 0x4a19b16e
	v_fma_f64 v[92:93], v[102:103], s[16:17], v[104:105]
	s_mov_b32 s3, 0x3f47d4ce
	v_fma_f64 v[96:97], v[102:103], s[16:17], v[96:97]
	s_mul_hi_u32 s1, s4, 0x7d
	v_fma_f64 v[94:95], v[98:99], s[16:17], v[106:107]
	v_add_f64 v[18:19], v[18:19], v[130:131]
	v_fma_f64 v[98:99], v[98:99], s[16:17], v[100:101]
	ds_store_b128 v200, v[0:3]
	ds_store_b128 v200, v[4:7] offset:880
	ds_store_b128 v200, v[12:15] offset:8800
	;; [unrolled: 1-line block ×24, first 2 shown]
	s_waitcnt lgkmcnt(0)
	s_barrier
	buffer_gl0_inv
	ds_load_b128 v[0:3], v200
	ds_load_b128 v[4:7], v200 offset:880
	ds_load_b128 v[8:11], v200 offset:2000
	scratch_load_b128 v[24:27], off, off offset:200 ; 16-byte Folded Reload
	ds_load_b128 v[12:15], v200 offset:2880
	s_waitcnt vmcnt(0) lgkmcnt(3)
	v_mul_f64 v[16:17], v[26:27], v[2:3]
	v_mul_f64 v[18:19], v[26:27], v[0:1]
	scratch_load_b128 v[26:29], off, off offset:392 ; 16-byte Folded Reload
	v_fma_f64 v[48:49], v[24:25], v[0:1], v[16:17]
	v_fma_f64 v[50:51], v[24:25], v[2:3], -v[18:19]
	ds_load_b128 v[0:3], v200 offset:4000
	ds_load_b128 v[16:19], v200 offset:6000
	s_waitcnt vmcnt(0) lgkmcnt(3)
	v_mul_f64 v[20:21], v[28:29], v[10:11]
	v_mul_f64 v[22:23], v[28:29], v[8:9]
	s_delay_alu instid0(VALU_DEP_2) | instskip(NEXT) | instid1(VALU_DEP_2)
	v_fma_f64 v[52:53], v[26:27], v[8:9], v[20:21]
	v_fma_f64 v[54:55], v[26:27], v[10:11], -v[22:23]
	scratch_load_b128 v[24:27], off, off offset:180 ; 16-byte Folded Reload
	ds_load_b128 v[8:11], v200 offset:4880
	s_waitcnt vmcnt(0) lgkmcnt(2)
	v_mul_f64 v[20:21], v[26:27], v[2:3]
	v_mul_f64 v[22:23], v[26:27], v[0:1]
	s_delay_alu instid0(VALU_DEP_2) | instskip(NEXT) | instid1(VALU_DEP_2)
	v_fma_f64 v[56:57], v[24:25], v[0:1], v[20:21]
	v_fma_f64 v[58:59], v[24:25], v[2:3], -v[22:23]
	scratch_load_b128 v[24:27], off, off offset:424 ; 16-byte Folded Reload
	ds_load_b128 v[20:23], v200 offset:6880
	s_waitcnt vmcnt(0) lgkmcnt(2)
	v_mul_f64 v[0:1], v[26:27], v[18:19]
	v_mul_f64 v[2:3], v[26:27], v[16:17]
	s_delay_alu instid0(VALU_DEP_2) | instskip(NEXT) | instid1(VALU_DEP_2)
	v_fma_f64 v[60:61], v[24:25], v[16:17], v[0:1]
	v_fma_f64 v[62:63], v[24:25], v[18:19], -v[2:3]
	ds_load_b128 v[0:3], v200 offset:8000
	ds_load_b128 v[16:19], v200 offset:8880
	scratch_load_b128 v[26:29], off, off offset:408 ; 16-byte Folded Reload
	s_waitcnt vmcnt(0) lgkmcnt(1)
	v_mul_f64 v[24:25], v[28:29], v[2:3]
	s_delay_alu instid0(VALU_DEP_1) | instskip(SKIP_1) | instid1(VALU_DEP_1)
	v_fma_f64 v[64:65], v[26:27], v[0:1], v[24:25]
	v_mul_f64 v[0:1], v[28:29], v[0:1]
	v_fma_f64 v[66:67], v[26:27], v[2:3], -v[0:1]
	ds_load_b128 v[0:3], v200 offset:10000
	ds_load_b128 v[24:27], v200 offset:10880
	scratch_load_b128 v[30:33], off, off offset:456 ; 16-byte Folded Reload
	s_waitcnt vmcnt(0) lgkmcnt(1)
	v_mul_f64 v[28:29], v[32:33], v[2:3]
	s_delay_alu instid0(VALU_DEP_1) | instskip(SKIP_1) | instid1(VALU_DEP_1)
	v_fma_f64 v[68:69], v[30:31], v[0:1], v[28:29]
	v_mul_f64 v[0:1], v[32:33], v[0:1]
	;; [unrolled: 9-line block ×6, first 2 shown]
	v_fma_f64 v[86:87], v[86:87], v[2:3], -v[0:1]
	ds_load_b128 v[0:3], v200 offset:20000
	ds_load_b128 v[44:47], v200 offset:20880
	s_clause 0x1
	scratch_load_b128 v[90:93], off, off offset:312
	scratch_load_b128 v[98:101], off, off offset:504
	s_waitcnt vmcnt(1) lgkmcnt(1)
	v_mul_f64 v[88:89], v[92:93], v[2:3]
	s_delay_alu instid0(VALU_DEP_1)
	v_fma_f64 v[88:89], v[90:91], v[0:1], v[88:89]
	v_mul_f64 v[0:1], v[92:93], v[0:1]
	scratch_load_b128 v[92:95], off, off offset:232 ; 16-byte Folded Reload
	v_fma_f64 v[0:1], v[90:91], v[2:3], -v[0:1]
	s_waitcnt vmcnt(0)
	v_mul_f64 v[2:3], v[94:95], v[6:7]
	s_delay_alu instid0(VALU_DEP_1) | instskip(SKIP_1) | instid1(VALU_DEP_1)
	v_fma_f64 v[90:91], v[92:93], v[4:5], v[2:3]
	v_mul_f64 v[2:3], v[94:95], v[4:5]
	v_fma_f64 v[92:93], v[92:93], v[6:7], -v[2:3]
	scratch_load_b128 v[4:7], off, off offset:280 ; 16-byte Folded Reload
	s_waitcnt vmcnt(0)
	v_mul_f64 v[2:3], v[6:7], v[14:15]
	s_delay_alu instid0(VALU_DEP_1) | instskip(SKIP_1) | instid1(VALU_DEP_1)
	v_fma_f64 v[94:95], v[4:5], v[12:13], v[2:3]
	v_mul_f64 v[2:3], v[6:7], v[12:13]
	v_fma_f64 v[96:97], v[4:5], v[14:15], -v[2:3]
	scratch_load_b64 v[2:3], off, off offset:156 ; 8-byte Folded Reload
	s_waitcnt vmcnt(0)
	v_mov_b32_e32 v6, v2
	s_delay_alu instid0(VALU_DEP_1) | instskip(NEXT) | instid1(VALU_DEP_1)
	v_mad_u64_u32 v[2:3], null, s6, v6, 0
	v_mad_u64_u32 v[4:5], null, s7, v6, v[3:4]
	v_mul_f64 v[6:7], v[50:51], s[2:3]
	v_mul_f64 v[50:51], v[74:75], s[2:3]
	s_delay_alu instid0(VALU_DEP_3) | instskip(SKIP_3) | instid1(VALU_DEP_1)
	v_mov_b32_e32 v3, v4
	v_mul_f64 v[4:5], v[48:49], s[2:3]
	scratch_load_b32 v48, off, off          ; 4-byte Folded Reload
	v_lshlrev_b64 v[2:3], 4, v[2:3]
	v_add_co_u32 v2, s0, s10, v2
	s_delay_alu instid0(VALU_DEP_1) | instskip(SKIP_2) | instid1(VALU_DEP_1)
	v_add_co_ci_u32_e64 v3, s0, s11, v3, s0
	s_waitcnt vmcnt(0)
	v_mad_u64_u32 v[12:13], null, s4, v48, 0
	v_mad_u64_u32 v[14:15], null, s5, v48, v[13:14]
	v_mul_f64 v[48:49], v[72:73], s[2:3]
	v_mul_f64 v[72:73], v[100:101], v[40:41]
	s_delay_alu instid0(VALU_DEP_3) | instskip(SKIP_1) | instid1(VALU_DEP_2)
	v_mov_b32_e32 v13, v14
	v_mul_f64 v[14:15], v[70:71], s[2:3]
	v_lshlrev_b64 v[12:13], 4, v[12:13]
	s_delay_alu instid0(VALU_DEP_1) | instskip(NEXT) | instid1(VALU_DEP_1)
	v_add_co_u32 v12, s0, v2, v12
	v_add_co_ci_u32_e64 v13, s0, v3, v13, s0
	s_mul_i32 s0, s5, 0x7d
	s_delay_alu instid0(SALU_CYCLE_1)
	s_add_i32 s1, s1, s0
	global_store_b128 v[12:13], v[4:7], off
	v_mul_f64 v[4:5], v[52:53], s[2:3]
	v_mul_f64 v[6:7], v[54:55], s[2:3]
	s_mul_i32 s0, s4, 0x7d
	v_mul_f64 v[54:55], v[78:79], s[2:3]
	s_lshl_b64 s[6:7], s[0:1], 4
	s_mul_hi_u32 s1, s4, 0xfffffb55
	v_add_co_u32 v12, s0, v12, s6
	s_delay_alu instid0(VALU_DEP_1)
	v_add_co_ci_u32_e64 v13, s0, s7, v13, s0
	s_sub_i32 s1, s1, s4
	global_store_b128 v[12:13], v[4:7], off
	v_mul_f64 v[4:5], v[56:57], s[2:3]
	v_mul_f64 v[6:7], v[58:59], s[2:3]
	v_add_co_u32 v12, s0, v12, s6
	s_delay_alu instid0(VALU_DEP_1) | instskip(NEXT) | instid1(VALU_DEP_2)
	v_add_co_ci_u32_e64 v13, s0, s7, v13, s0
	v_add_co_u32 v52, s0, v12, s6
	s_delay_alu instid0(VALU_DEP_1) | instskip(NEXT) | instid1(VALU_DEP_2)
	v_add_co_ci_u32_e64 v53, s0, s7, v13, s0
	v_add_co_u32 v56, s0, v52, s6
	s_delay_alu instid0(VALU_DEP_1) | instskip(NEXT) | instid1(VALU_DEP_2)
	v_add_co_ci_u32_e64 v57, s0, s7, v53, s0
	v_add_co_u32 v58, s0, v56, s6
	s_delay_alu instid0(VALU_DEP_1)
	v_add_co_ci_u32_e64 v59, s0, s7, v57, s0
	global_store_b128 v[12:13], v[4:7], off
	v_mul_f64 v[4:5], v[60:61], s[2:3]
	v_mul_f64 v[6:7], v[62:63], s[2:3]
	;; [unrolled: 1-line block ×3, first 2 shown]
	global_store_b128 v[52:53], v[4:7], off
	v_mul_f64 v[4:5], v[64:65], s[2:3]
	v_mul_f64 v[6:7], v[66:67], s[2:3]
	scratch_load_b128 v[66:69], off, off offset:216 ; 16-byte Folded Reload
	v_mul_f64 v[52:53], v[76:77], s[2:3]
	global_store_b128 v[56:57], v[4:7], off
	v_mul_f64 v[4:5], v[80:81], s[2:3]
	scratch_load_b128 v[78:81], off, off offset:264 ; 16-byte Folded Reload
	global_store_b128 v[58:59], v[12:15], off
	v_add_co_u32 v12, s0, v58, s6
	s_delay_alu instid0(VALU_DEP_1) | instskip(SKIP_1) | instid1(VALU_DEP_3)
	v_add_co_ci_u32_e64 v13, s0, s7, v59, s0
	v_mul_f64 v[6:7], v[82:83], s[2:3]
	v_add_co_u32 v58, s0, v12, s6
	s_delay_alu instid0(VALU_DEP_1)
	v_add_co_ci_u32_e64 v59, s0, s7, v13, s0
	global_store_b128 v[12:13], v[48:51], off
	v_mul_f64 v[50:51], v[0:1], s[2:3]
	v_mul_f64 v[12:13], v[84:85], s[2:3]
	global_store_b128 v[58:59], v[52:55], off
	v_add_co_u32 v52, s0, v58, s6
	s_delay_alu instid0(VALU_DEP_1) | instskip(SKIP_4) | instid1(VALU_DEP_1)
	v_add_co_ci_u32_e64 v53, s0, s7, v59, s0
	v_mul_f64 v[14:15], v[86:87], s[2:3]
	v_mul_f64 v[48:49], v[88:89], s[2:3]
	global_store_b128 v[52:53], v[4:7], off
	v_add_co_u32 v4, s0, v52, s6
	v_add_co_ci_u32_e64 v5, s0, s7, v53, s0
	s_delay_alu instid0(VALU_DEP_2) | instskip(NEXT) | instid1(VALU_DEP_1)
	v_add_co_u32 v52, s0, v4, s6
	v_add_co_ci_u32_e64 v53, s0, s7, v5, s0
	s_mul_i32 s0, s5, 0xfffffb55
	s_delay_alu instid0(SALU_CYCLE_1) | instskip(SKIP_1) | instid1(SALU_CYCLE_1)
	s_add_i32 s1, s1, s0
	s_mul_i32 s0, s4, 0xfffffb55
	s_lshl_b64 s[8:9], s[0:1], 4
	s_waitcnt vmcnt(1)
	v_mul_f64 v[56:57], v[68:69], v[10:11]
	v_mul_f64 v[60:61], v[68:69], v[8:9]
	scratch_load_b128 v[68:71], off, off offset:248 ; 16-byte Folded Reload
	v_fma_f64 v[56:57], v[66:67], v[8:9], v[56:57]
	s_waitcnt vmcnt(1)
	v_mul_f64 v[0:1], v[80:81], v[18:19]
	v_mul_f64 v[54:55], v[80:81], v[16:17]
	scratch_load_b128 v[80:83], off, off offset:296 ; 16-byte Folded Reload
	v_fma_f64 v[58:59], v[66:67], v[10:11], -v[60:61]
	v_fma_f64 v[0:1], v[78:79], v[16:17], v[0:1]
	s_waitcnt vmcnt(1)
	v_mul_f64 v[62:63], v[70:71], v[22:23]
	v_mul_f64 v[64:65], v[70:71], v[20:21]
	;; [unrolled: 1-line block ×3, first 2 shown]
	scratch_load_b128 v[100:103], off, off offset:520 ; 16-byte Folded Reload
	v_fma_f64 v[42:43], v[98:99], v[42:43], -v[72:73]
	v_fma_f64 v[20:21], v[68:69], v[20:21], v[62:63]
	s_waitcnt vmcnt(1)
	v_mul_f64 v[8:9], v[82:83], v[26:27]
	v_mul_f64 v[10:11], v[82:83], v[24:25]
	scratch_load_b128 v[82:85], off, off offset:344 ; 16-byte Folded Reload
	v_fma_f64 v[22:23], v[68:69], v[22:23], -v[64:65]
	v_fma_f64 v[40:41], v[98:99], v[40:41], v[70:71]
	v_mul_f64 v[42:43], v[42:43], s[2:3]
	v_mul_f64 v[16:17], v[20:21], s[2:3]
	v_fma_f64 v[24:25], v[80:81], v[24:25], v[8:9]
	v_fma_f64 v[26:27], v[80:81], v[26:27], -v[10:11]
	v_mul_f64 v[8:9], v[94:95], s[2:3]
	v_mul_f64 v[10:11], v[96:97], s[2:3]
	;; [unrolled: 1-line block ×6, first 2 shown]
	s_waitcnt vmcnt(1) lgkmcnt(0)
	v_mul_f64 v[74:75], v[102:103], v[46:47]
	v_mul_f64 v[76:77], v[102:103], v[44:45]
	s_waitcnt vmcnt(0)
	v_mul_f64 v[60:61], v[84:85], v[30:31]
	v_mul_f64 v[66:67], v[84:85], v[28:29]
	scratch_load_b128 v[84:87], off, off offset:360 ; 16-byte Folded Reload
	v_fma_f64 v[44:45], v[100:101], v[44:45], v[74:75]
	v_fma_f64 v[46:47], v[100:101], v[46:47], -v[76:77]
	v_fma_f64 v[28:29], v[82:83], v[28:29], v[60:61]
	v_fma_f64 v[30:31], v[82:83], v[30:31], -v[66:67]
	s_delay_alu instid0(VALU_DEP_4) | instskip(NEXT) | instid1(VALU_DEP_4)
	v_mul_f64 v[44:45], v[44:45], s[2:3]
	v_mul_f64 v[46:47], v[46:47], s[2:3]
	s_delay_alu instid0(VALU_DEP_4) | instskip(NEXT) | instid1(VALU_DEP_4)
	v_mul_f64 v[28:29], v[28:29], s[2:3]
	v_mul_f64 v[30:31], v[30:31], s[2:3]
	s_waitcnt vmcnt(0)
	v_mul_f64 v[62:63], v[86:87], v[34:35]
	v_mul_f64 v[64:65], v[86:87], v[32:33]
	scratch_load_b128 v[86:89], off, off offset:376 ; 16-byte Folded Reload
	global_store_b128 v[4:5], v[12:15], off
	global_store_b128 v[52:53], v[48:51], off
	v_fma_f64 v[48:49], v[78:79], v[18:19], -v[54:55]
	v_mul_f64 v[4:5], v[90:91], s[2:3]
	v_add_co_u32 v50, s0, v52, s8
	s_delay_alu instid0(VALU_DEP_1) | instskip(SKIP_1) | instid1(VALU_DEP_3)
	v_add_co_ci_u32_e64 v51, s0, s9, v53, s0
	v_mul_f64 v[12:13], v[56:57], s[2:3]
	v_add_co_u32 v52, s0, v50, s6
	s_delay_alu instid0(VALU_DEP_1) | instskip(SKIP_1) | instid1(VALU_DEP_3)
	v_add_co_ci_u32_e64 v53, s0, s7, v51, s0
	;; [unrolled: 4-line block ×3, first 2 shown]
	v_mul_f64 v[18:19], v[22:23], s[2:3]
	v_add_co_u32 v0, s0, v54, s6
	s_delay_alu instid0(VALU_DEP_1) | instskip(SKIP_4) | instid1(VALU_DEP_1)
	v_add_co_ci_u32_e64 v1, s0, s7, v55, s0
	v_fma_f64 v[32:33], v[84:85], v[32:33], v[62:63]
	v_fma_f64 v[34:35], v[84:85], v[34:35], -v[64:65]
	v_mul_f64 v[22:23], v[48:49], s[2:3]
	v_add_co_u32 v48, s0, v0, s6
	v_add_co_ci_u32_e64 v49, s0, s7, v1, s0
	v_mul_f64 v[32:33], v[32:33], s[2:3]
	v_mul_f64 v[34:35], v[34:35], s[2:3]
	s_waitcnt vmcnt(0)
	v_mul_f64 v[68:69], v[88:89], v[38:39]
	v_mul_f64 v[6:7], v[88:89], v[36:37]
	s_delay_alu instid0(VALU_DEP_2) | instskip(NEXT) | instid1(VALU_DEP_2)
	v_fma_f64 v[36:37], v[86:87], v[36:37], v[68:69]
	v_fma_f64 v[38:39], v[86:87], v[38:39], -v[6:7]
	v_mul_f64 v[6:7], v[92:93], s[2:3]
	s_delay_alu instid0(VALU_DEP_3) | instskip(NEXT) | instid1(VALU_DEP_3)
	v_mul_f64 v[36:37], v[36:37], s[2:3]
	v_mul_f64 v[38:39], v[38:39], s[2:3]
	global_store_b128 v[50:51], v[4:7], off
	v_add_co_u32 v4, s0, v48, s6
	s_delay_alu instid0(VALU_DEP_1) | instskip(SKIP_2) | instid1(VALU_DEP_1)
	v_add_co_ci_u32_e64 v5, s0, s7, v49, s0
	global_store_b128 v[52:53], v[8:11], off
	v_add_co_u32 v6, s0, v4, s6
	v_add_co_ci_u32_e64 v7, s0, s7, v5, s0
	global_store_b128 v[54:55], v[12:15], off
	v_add_co_u32 v8, s0, v6, s6
	s_delay_alu instid0(VALU_DEP_1) | instskip(SKIP_2) | instid1(VALU_DEP_1)
	v_add_co_ci_u32_e64 v9, s0, s7, v7, s0
	global_store_b128 v[0:1], v[16:19], off
	v_add_co_u32 v10, s0, v8, s6
	v_add_co_ci_u32_e64 v11, s0, s7, v9, s0
	;; [unrolled: 7-line block ×3, first 2 shown]
	global_store_b128 v[6:7], v[28:31], off
	global_store_b128 v[8:9], v[32:35], off
	;; [unrolled: 1-line block ×5, first 2 shown]
	s_and_b32 exec_lo, exec_lo, vcc_lo
	s_cbranch_execz .LBB0_15
; %bb.14:
	scratch_load_b64 v[18:19], off, off offset:132 ; 8-byte Folded Reload
	v_add_co_u32 v0, vcc_lo, v0, s8
	v_add_co_ci_u32_e32 v1, vcc_lo, s9, v1, vcc_lo
	s_waitcnt vmcnt(0)
	global_load_b128 v[4:7], v[18:19], off offset:1760
	ds_load_b128 v[8:11], v200 offset:1760
	ds_load_b128 v[12:15], v200 offset:3760
	s_waitcnt vmcnt(0) lgkmcnt(1)
	v_mul_f64 v[16:17], v[10:11], v[6:7]
	v_mul_f64 v[6:7], v[8:9], v[6:7]
	s_delay_alu instid0(VALU_DEP_2) | instskip(NEXT) | instid1(VALU_DEP_2)
	v_fma_f64 v[8:9], v[8:9], v[4:5], v[16:17]
	v_fma_f64 v[6:7], v[4:5], v[10:11], -v[6:7]
	s_delay_alu instid0(VALU_DEP_2) | instskip(NEXT) | instid1(VALU_DEP_2)
	v_mul_f64 v[4:5], v[8:9], s[2:3]
	v_mul_f64 v[6:7], v[6:7], s[2:3]
	global_store_b128 v[0:1], v[4:7], off
	global_load_b128 v[4:7], v[18:19], off offset:3760
	scratch_load_b64 v[18:19], off, off offset:172 ; 8-byte Folded Reload
	v_add_co_u32 v0, vcc_lo, v0, s6
	v_add_co_ci_u32_e32 v1, vcc_lo, s7, v1, vcc_lo
	s_waitcnt vmcnt(1) lgkmcnt(0)
	v_mul_f64 v[8:9], v[14:15], v[6:7]
	v_mul_f64 v[6:7], v[12:13], v[6:7]
	s_delay_alu instid0(VALU_DEP_2) | instskip(NEXT) | instid1(VALU_DEP_2)
	v_fma_f64 v[8:9], v[12:13], v[4:5], v[8:9]
	v_fma_f64 v[6:7], v[4:5], v[14:15], -v[6:7]
	s_delay_alu instid0(VALU_DEP_2) | instskip(NEXT) | instid1(VALU_DEP_2)
	v_mul_f64 v[4:5], v[8:9], s[2:3]
	v_mul_f64 v[6:7], v[6:7], s[2:3]
	global_store_b128 v[0:1], v[4:7], off
	s_waitcnt vmcnt(0)
	global_load_b128 v[4:7], v[18:19], off offset:1664
	ds_load_b128 v[8:11], v200 offset:5760
	ds_load_b128 v[12:15], v200 offset:7760
	v_add_co_u32 v0, vcc_lo, v0, s6
	v_add_co_ci_u32_e32 v1, vcc_lo, s7, v1, vcc_lo
	s_waitcnt vmcnt(0) lgkmcnt(1)
	v_mul_f64 v[16:17], v[10:11], v[6:7]
	v_mul_f64 v[6:7], v[8:9], v[6:7]
	s_delay_alu instid0(VALU_DEP_2) | instskip(NEXT) | instid1(VALU_DEP_2)
	v_fma_f64 v[8:9], v[8:9], v[4:5], v[16:17]
	v_fma_f64 v[6:7], v[4:5], v[10:11], -v[6:7]
	s_delay_alu instid0(VALU_DEP_2) | instskip(NEXT) | instid1(VALU_DEP_2)
	v_mul_f64 v[4:5], v[8:9], s[2:3]
	v_mul_f64 v[6:7], v[6:7], s[2:3]
	global_store_b128 v[0:1], v[4:7], off
	global_load_b128 v[4:7], v[18:19], off offset:3664
	scratch_load_b64 v[18:19], off, off offset:164 ; 8-byte Folded Reload
	v_add_co_u32 v0, vcc_lo, v0, s6
	v_add_co_ci_u32_e32 v1, vcc_lo, s7, v1, vcc_lo
	s_waitcnt vmcnt(1) lgkmcnt(0)
	v_mul_f64 v[8:9], v[14:15], v[6:7]
	v_mul_f64 v[6:7], v[12:13], v[6:7]
	s_delay_alu instid0(VALU_DEP_2) | instskip(NEXT) | instid1(VALU_DEP_2)
	v_fma_f64 v[8:9], v[12:13], v[4:5], v[8:9]
	v_fma_f64 v[6:7], v[4:5], v[14:15], -v[6:7]
	s_delay_alu instid0(VALU_DEP_2) | instskip(NEXT) | instid1(VALU_DEP_2)
	v_mul_f64 v[4:5], v[8:9], s[2:3]
	v_mul_f64 v[6:7], v[6:7], s[2:3]
	global_store_b128 v[0:1], v[4:7], off
	s_waitcnt vmcnt(0)
	global_load_b128 v[4:7], v[18:19], off offset:1568
	ds_load_b128 v[8:11], v200 offset:9760
	ds_load_b128 v[12:15], v200 offset:11760
	v_add_co_u32 v0, vcc_lo, v0, s6
	v_add_co_ci_u32_e32 v1, vcc_lo, s7, v1, vcc_lo
	;; [unrolled: 30-line block ×4, first 2 shown]
	s_waitcnt vmcnt(0) lgkmcnt(1)
	v_mul_f64 v[16:17], v[10:11], v[6:7]
	v_mul_f64 v[6:7], v[8:9], v[6:7]
	s_delay_alu instid0(VALU_DEP_2) | instskip(NEXT) | instid1(VALU_DEP_2)
	v_fma_f64 v[8:9], v[8:9], v[4:5], v[16:17]
	v_fma_f64 v[6:7], v[4:5], v[10:11], -v[6:7]
	s_delay_alu instid0(VALU_DEP_2) | instskip(NEXT) | instid1(VALU_DEP_2)
	v_mul_f64 v[4:5], v[8:9], s[2:3]
	v_mul_f64 v[6:7], v[6:7], s[2:3]
	global_store_b128 v[0:1], v[4:7], off
	global_load_b128 v[4:7], v[18:19], off offset:3376
	v_add_co_u32 v0, vcc_lo, v0, s6
	v_add_co_ci_u32_e32 v1, vcc_lo, s7, v1, vcc_lo
	s_waitcnt vmcnt(0) lgkmcnt(0)
	v_mul_f64 v[8:9], v[14:15], v[6:7]
	v_mul_f64 v[6:7], v[12:13], v[6:7]
	s_delay_alu instid0(VALU_DEP_2) | instskip(SKIP_3) | instid1(VALU_DEP_2)
	v_fma_f64 v[8:9], v[12:13], v[4:5], v[8:9]
	scratch_load_b32 v12, off, off offset:196 ; 4-byte Folded Reload
	v_fma_f64 v[6:7], v[4:5], v[14:15], -v[6:7]
	v_mul_f64 v[4:5], v[8:9], s[2:3]
	v_mul_f64 v[6:7], v[6:7], s[2:3]
	global_store_b128 v[0:1], v[4:7], off
	s_waitcnt vmcnt(0)
	v_lshlrev_b32_e32 v8, 4, v12
	global_load_b128 v[4:7], v8, s[12:13]
	ds_load_b128 v[8:11], v200 offset:21760
	s_waitcnt vmcnt(0) lgkmcnt(0)
	v_mul_f64 v[0:1], v[10:11], v[6:7]
	v_mul_f64 v[6:7], v[8:9], v[6:7]
	s_delay_alu instid0(VALU_DEP_2) | instskip(NEXT) | instid1(VALU_DEP_2)
	v_fma_f64 v[0:1], v[8:9], v[4:5], v[0:1]
	v_fma_f64 v[6:7], v[4:5], v[10:11], -v[6:7]
	v_mad_u64_u32 v[8:9], null, s4, v12, 0
	s_delay_alu instid0(VALU_DEP_3) | instskip(NEXT) | instid1(VALU_DEP_3)
	v_mul_f64 v[4:5], v[0:1], s[2:3]
	v_mul_f64 v[6:7], v[6:7], s[2:3]
	s_delay_alu instid0(VALU_DEP_3) | instskip(NEXT) | instid1(VALU_DEP_1)
	v_mov_b32_e32 v0, v9
	v_mad_u64_u32 v[9:10], null, s5, v12, v[0:1]
	s_delay_alu instid0(VALU_DEP_1) | instskip(NEXT) | instid1(VALU_DEP_1)
	v_lshlrev_b64 v[0:1], 4, v[8:9]
	v_add_co_u32 v0, vcc_lo, v2, v0
	s_delay_alu instid0(VALU_DEP_2)
	v_add_co_ci_u32_e32 v1, vcc_lo, v3, v1, vcc_lo
	global_store_b128 v[0:1], v[4:7], off
.LBB0_15:
	s_nop 0
	s_sendmsg sendmsg(MSG_DEALLOC_VGPRS)
	s_endpgm
	.section	.rodata,"a",@progbits
	.p2align	6, 0x0
	.amdhsa_kernel bluestein_single_back_len1375_dim1_dp_op_CI_CI
		.amdhsa_group_segment_fixed_size 22000
		.amdhsa_private_segment_fixed_size 1260
		.amdhsa_kernarg_size 104
		.amdhsa_user_sgpr_count 15
		.amdhsa_user_sgpr_dispatch_ptr 0
		.amdhsa_user_sgpr_queue_ptr 0
		.amdhsa_user_sgpr_kernarg_segment_ptr 1
		.amdhsa_user_sgpr_dispatch_id 0
		.amdhsa_user_sgpr_private_segment_size 0
		.amdhsa_wavefront_size32 1
		.amdhsa_uses_dynamic_stack 0
		.amdhsa_enable_private_segment 1
		.amdhsa_system_sgpr_workgroup_id_x 1
		.amdhsa_system_sgpr_workgroup_id_y 0
		.amdhsa_system_sgpr_workgroup_id_z 0
		.amdhsa_system_sgpr_workgroup_info 0
		.amdhsa_system_vgpr_workitem_id 0
		.amdhsa_next_free_vgpr 256
		.amdhsa_next_free_sgpr 40
		.amdhsa_reserve_vcc 1
		.amdhsa_float_round_mode_32 0
		.amdhsa_float_round_mode_16_64 0
		.amdhsa_float_denorm_mode_32 3
		.amdhsa_float_denorm_mode_16_64 3
		.amdhsa_dx10_clamp 1
		.amdhsa_ieee_mode 1
		.amdhsa_fp16_overflow 0
		.amdhsa_workgroup_processor_mode 1
		.amdhsa_memory_ordered 1
		.amdhsa_forward_progress 0
		.amdhsa_shared_vgpr_count 0
		.amdhsa_exception_fp_ieee_invalid_op 0
		.amdhsa_exception_fp_denorm_src 0
		.amdhsa_exception_fp_ieee_div_zero 0
		.amdhsa_exception_fp_ieee_overflow 0
		.amdhsa_exception_fp_ieee_underflow 0
		.amdhsa_exception_fp_ieee_inexact 0
		.amdhsa_exception_int_div_zero 0
	.end_amdhsa_kernel
	.text
.Lfunc_end0:
	.size	bluestein_single_back_len1375_dim1_dp_op_CI_CI, .Lfunc_end0-bluestein_single_back_len1375_dim1_dp_op_CI_CI
                                        ; -- End function
	.section	.AMDGPU.csdata,"",@progbits
; Kernel info:
; codeLenInByte = 50936
; NumSgprs: 42
; NumVgprs: 256
; ScratchSize: 1260
; MemoryBound: 0
; FloatMode: 240
; IeeeMode: 1
; LDSByteSize: 22000 bytes/workgroup (compile time only)
; SGPRBlocks: 5
; VGPRBlocks: 31
; NumSGPRsForWavesPerEU: 42
; NumVGPRsForWavesPerEU: 256
; Occupancy: 3
; WaveLimiterHint : 1
; COMPUTE_PGM_RSRC2:SCRATCH_EN: 1
; COMPUTE_PGM_RSRC2:USER_SGPR: 15
; COMPUTE_PGM_RSRC2:TRAP_HANDLER: 0
; COMPUTE_PGM_RSRC2:TGID_X_EN: 1
; COMPUTE_PGM_RSRC2:TGID_Y_EN: 0
; COMPUTE_PGM_RSRC2:TGID_Z_EN: 0
; COMPUTE_PGM_RSRC2:TIDIG_COMP_CNT: 0
	.text
	.p2alignl 7, 3214868480
	.fill 96, 4, 3214868480
	.type	__hip_cuid_e6de94ab6a77daf0,@object ; @__hip_cuid_e6de94ab6a77daf0
	.section	.bss,"aw",@nobits
	.globl	__hip_cuid_e6de94ab6a77daf0
__hip_cuid_e6de94ab6a77daf0:
	.byte	0                               ; 0x0
	.size	__hip_cuid_e6de94ab6a77daf0, 1

	.ident	"AMD clang version 19.0.0git (https://github.com/RadeonOpenCompute/llvm-project roc-6.4.0 25133 c7fe45cf4b819c5991fe208aaa96edf142730f1d)"
	.section	".note.GNU-stack","",@progbits
	.addrsig
	.addrsig_sym __hip_cuid_e6de94ab6a77daf0
	.amdgpu_metadata
---
amdhsa.kernels:
  - .args:
      - .actual_access:  read_only
        .address_space:  global
        .offset:         0
        .size:           8
        .value_kind:     global_buffer
      - .actual_access:  read_only
        .address_space:  global
        .offset:         8
        .size:           8
        .value_kind:     global_buffer
      - .actual_access:  read_only
        .address_space:  global
        .offset:         16
        .size:           8
        .value_kind:     global_buffer
      - .actual_access:  read_only
        .address_space:  global
        .offset:         24
        .size:           8
        .value_kind:     global_buffer
      - .actual_access:  read_only
        .address_space:  global
        .offset:         32
        .size:           8
        .value_kind:     global_buffer
      - .offset:         40
        .size:           8
        .value_kind:     by_value
      - .address_space:  global
        .offset:         48
        .size:           8
        .value_kind:     global_buffer
      - .address_space:  global
        .offset:         56
        .size:           8
        .value_kind:     global_buffer
      - .address_space:  global
        .offset:         64
        .size:           8
        .value_kind:     global_buffer
      - .address_space:  global
        .offset:         72
        .size:           8
        .value_kind:     global_buffer
      - .offset:         80
        .size:           4
        .value_kind:     by_value
      - .address_space:  global
        .offset:         88
        .size:           8
        .value_kind:     global_buffer
      - .address_space:  global
        .offset:         96
        .size:           8
        .value_kind:     global_buffer
    .group_segment_fixed_size: 22000
    .kernarg_segment_align: 8
    .kernarg_segment_size: 104
    .language:       OpenCL C
    .language_version:
      - 2
      - 0
    .max_flat_workgroup_size: 55
    .name:           bluestein_single_back_len1375_dim1_dp_op_CI_CI
    .private_segment_fixed_size: 1260
    .sgpr_count:     42
    .sgpr_spill_count: 0
    .symbol:         bluestein_single_back_len1375_dim1_dp_op_CI_CI.kd
    .uniform_work_group_size: 1
    .uses_dynamic_stack: false
    .vgpr_count:     256
    .vgpr_spill_count: 346
    .wavefront_size: 32
    .workgroup_processor_mode: 1
amdhsa.target:   amdgcn-amd-amdhsa--gfx1100
amdhsa.version:
  - 1
  - 2
...

	.end_amdgpu_metadata
